;; amdgpu-corpus repo=ROCm/rocFFT kind=compiled arch=gfx1030 opt=O3
	.text
	.amdgcn_target "amdgcn-amd-amdhsa--gfx1030"
	.amdhsa_code_object_version 6
	.protected	bluestein_single_fwd_len85_dim1_sp_op_CI_CI ; -- Begin function bluestein_single_fwd_len85_dim1_sp_op_CI_CI
	.globl	bluestein_single_fwd_len85_dim1_sp_op_CI_CI
	.p2align	8
	.type	bluestein_single_fwd_len85_dim1_sp_op_CI_CI,@function
bluestein_single_fwd_len85_dim1_sp_op_CI_CI: ; @bluestein_single_fwd_len85_dim1_sp_op_CI_CI
; %bb.0:
	s_load_dwordx4 s[0:3], s[4:5], 0x28
	v_mul_u32_u24_e32 v1, 0xf10, v0
	v_lshrrev_b32_e32 v1, 16, v1
	v_mad_u64_u32 v[56:57], null, s6, 15, v[1:2]
	v_mov_b32_e32 v57, 0
	s_waitcnt lgkmcnt(0)
	v_cmp_gt_u64_e32 vcc_lo, s[0:1], v[56:57]
	s_and_saveexec_b32 s0, vcc_lo
	s_cbranch_execz .LBB0_15
; %bb.1:
	v_mul_hi_u32 v2, 0x88888889, v56
	v_mul_lo_u16 v1, v1, 17
	s_clause 0x1
	s_load_dwordx2 s[6:7], s[4:5], 0x0
	s_load_dwordx2 s[12:13], s[4:5], 0x38
	v_sub_nc_u16 v0, v0, v1
	v_lshrrev_b32_e32 v2, 3, v2
	v_and_b32_e32 v63, 0xffff, v0
	v_cmp_gt_u16_e32 vcc_lo, 5, v0
	v_mul_lo_u32 v2, v2, 15
	v_lshlrev_b32_e32 v60, 3, v63
	v_or_b32_e32 v61, 40, v63
	v_or_b32_e32 v59, 0x50, v63
	v_sub_nc_u32_e32 v1, v56, v2
	v_mul_u32_u24_e32 v62, 0x55, v1
	v_lshlrev_b32_e32 v64, 3, v62
	s_and_saveexec_b32 s1, vcc_lo
	s_cbranch_execz .LBB0_3
; %bb.2:
	s_load_dwordx2 s[8:9], s[4:5], 0x18
	s_waitcnt lgkmcnt(0)
	global_load_dwordx2 v[4:5], v60, s[6:7]
	s_load_dwordx4 s[8:11], s[8:9], 0x0
	s_waitcnt lgkmcnt(0)
	v_mad_u64_u32 v[0:1], null, s10, v56, 0
	v_mad_u64_u32 v[2:3], null, s8, v63, 0
	;; [unrolled: 1-line block ×3, first 2 shown]
	s_mul_i32 s0, s9, 40
	s_mul_hi_u32 s10, s8, 40
	s_add_i32 s10, s10, s0
	v_mad_u64_u32 v[6:7], null, s11, v56, v[1:2]
	global_load_dwordx2 v[7:8], v60, s[6:7] offset:320
	s_mul_i32 s11, s8, 40
	v_mov_b32_e32 v1, v6
	v_lshlrev_b64 v[0:1], 3, v[0:1]
	v_add_co_u32 v26, s0, s2, v0
	v_add_co_ci_u32_e64 v27, s0, s3, v1, s0
	s_waitcnt vmcnt(1)
	v_mad_u64_u32 v[9:10], null, s9, v63, v[3:4]
	v_mad_u64_u32 v[10:11], null, s8, v61, 0
	v_mov_b32_e32 v3, v9
	v_mov_b32_e32 v9, v13
	;; [unrolled: 1-line block ×3, first 2 shown]
	v_lshlrev_b64 v[2:3], 3, v[2:3]
	v_mad_u64_u32 v[13:14], null, s9, v59, v[9:10]
	s_waitcnt vmcnt(0)
	v_mad_u64_u32 v[0:1], null, s9, v61, v[6:7]
	v_add_co_u32 v1, s0, v26, v2
	v_add_co_ci_u32_e64 v2, s0, v27, v3, s0
	v_add_co_u32 v14, s0, v1, s11
	v_add_co_ci_u32_e64 v15, s0, s10, v2, s0
	v_mov_b32_e32 v11, v0
	v_add_co_u32 v16, s0, v14, s11
	v_add_co_ci_u32_e64 v17, s0, s10, v15, s0
	v_lshlrev_b64 v[9:10], 3, v[10:11]
	v_add_co_u32 v18, s0, v16, s11
	v_add_co_ci_u32_e64 v19, s0, s10, v17, s0
	v_lshlrev_b64 v[11:12], 3, v[12:13]
	v_add_co_u32 v20, s0, v18, s11
	v_add_co_ci_u32_e64 v21, s0, s10, v19, s0
	v_add_co_u32 v22, s0, v20, s11
	v_add_co_ci_u32_e64 v23, s0, s10, v21, s0
	;; [unrolled: 2-line block ×6, first 2 shown]
	global_load_dwordx2 v[0:1], v[1:2], off
	global_load_dwordx2 v[2:3], v60, s[6:7] offset:640
	s_clause 0x2
	global_load_dwordx2 v[9:10], v[9:10], off
	global_load_dwordx2 v[11:12], v[11:12], off
	;; [unrolled: 1-line block ×3, first 2 shown]
	s_clause 0x2
	global_load_dwordx2 v[30:31], v60, s[6:7] offset:40
	global_load_dwordx2 v[32:33], v60, s[6:7] offset:80
	;; [unrolled: 1-line block ×3, first 2 shown]
	global_load_dwordx2 v[15:16], v[16:17], off
	s_clause 0x2
	global_load_dwordx2 v[36:37], v60, s[6:7] offset:360
	global_load_dwordx2 v[38:39], v60, s[6:7] offset:400
	;; [unrolled: 1-line block ×3, first 2 shown]
	s_clause 0x1
	global_load_dwordx2 v[17:18], v[18:19], off
	global_load_dwordx2 v[19:20], v[20:21], off
	v_mad_u64_u32 v[28:29], null, 0x50, s8, v[26:27]
	v_mov_b32_e32 v6, v29
	v_add_co_u32 v57, s0, v28, s11
	v_mad_u64_u32 v[42:43], null, 0x50, s9, v[6:7]
	s_clause 0x5
	global_load_dwordx2 v[43:44], v60, s[6:7] offset:160
	global_load_dwordx2 v[45:46], v60, s[6:7] offset:200
	;; [unrolled: 1-line block ×6, first 2 shown]
	global_load_dwordx2 v[21:22], v[22:23], off
	global_load_dwordx2 v[23:24], v[24:25], off
	;; [unrolled: 1-line block ×3, first 2 shown]
	v_mov_b32_e32 v29, v42
	v_add_nc_u32_e32 v42, v64, v60
	v_add_co_ci_u32_e64 v58, s0, s10, v29, s0
	v_add_co_u32 v65, s0, v57, s11
	global_load_dwordx2 v[27:28], v[28:29], off
	v_add_co_ci_u32_e64 v66, s0, s10, v58, s0
	v_add_co_u32 v67, s0, v65, s11
	global_load_dwordx2 v[57:58], v[57:58], off
	;; [unrolled: 3-line block ×5, first 2 shown]
	v_add_co_ci_u32_e64 v74, s0, s10, v72, s0
	global_load_dwordx2 v[71:72], v[71:72], off
	s_clause 0x1
	global_load_dwordx2 v[75:76], v60, s[6:7] offset:560
	global_load_dwordx2 v[77:78], v60, s[6:7] offset:600
	global_load_dwordx2 v[73:74], v[73:74], off
	v_lshl_add_u32 v29, v63, 3, v64
	s_waitcnt vmcnt(31)
	v_mul_f32_e32 v79, v1, v5
	v_mul_f32_e32 v6, v0, v5
	s_waitcnt vmcnt(29)
	v_mul_f32_e32 v5, v10, v8
	v_mul_f32_e32 v55, v9, v8
	s_waitcnt vmcnt(28)
	v_mul_f32_e32 v8, v12, v3
	v_fmac_f32_e32 v79, v0, v4
	v_fma_f32 v80, v1, v4, -v6
	s_waitcnt vmcnt(26)
	v_mul_f32_e32 v0, v14, v31
	v_fmac_f32_e32 v5, v9, v7
	v_fma_f32 v6, v10, v7, -v55
	s_waitcnt vmcnt(19)
	v_mul_f32_e32 v7, v17, v35
	v_mul_f32_e32 v81, v11, v3
	;; [unrolled: 1-line block ×5, first 2 shown]
	v_fmac_f32_e32 v0, v13, v30
	v_mul_f32_e32 v9, v18, v35
	s_waitcnt vmcnt(17)
	v_mul_f32_e32 v13, v20, v44
	v_fma_f32 v10, v18, v34, -v7
	v_mul_f32_e32 v7, v19, v44
	v_fma_f32 v1, v14, v30, -v1
	v_fma_f32 v4, v16, v32, -v4
	v_fmac_f32_e32 v3, v15, v32
	v_fmac_f32_e32 v9, v17, v34
	;; [unrolled: 1-line block ×3, first 2 shown]
	v_fma_f32 v14, v20, v43, -v7
	v_fmac_f32_e32 v8, v11, v2
	ds_write_b64 v29, v[79:80]
	s_waitcnt vmcnt(11)
	v_mul_f32_e32 v11, v21, v46
	v_mul_f32_e32 v15, v22, v46
	s_waitcnt vmcnt(10)
	v_mul_f32_e32 v18, v23, v48
	v_mul_f32_e32 v17, v24, v48
	ds_write2_b64 v42, v[0:1], v[3:4] offset0:5 offset1:10
	ds_write2_b64 v42, v[9:10], v[13:14] offset0:15 offset1:20
	s_waitcnt vmcnt(9)
	v_mul_f32_e32 v1, v25, v50
	v_fma_f32 v16, v22, v45, -v11
	v_fmac_f32_e32 v15, v21, v45
	s_waitcnt vmcnt(8)
	v_mul_f32_e32 v4, v27, v37
	v_fma_f32 v18, v24, v47, -v18
	v_fmac_f32_e32 v17, v23, v47
	v_fma_f32 v20, v26, v49, -v1
	v_mul_f32_e32 v19, v26, v50
	s_waitcnt vmcnt(7)
	v_mul_f32_e32 v7, v57, v39
	v_fma_f32 v1, v28, v36, -v4
	v_mul_f32_e32 v0, v28, v37
	v_mul_f32_e32 v3, v58, v39
	ds_write2_b64 v42, v[15:16], v[17:18] offset0:25 offset1:30
	v_fma_f32 v4, v58, v38, -v7
	s_waitcnt vmcnt(6)
	v_mul_f32_e32 v7, v65, v41
	v_mul_f32_e32 v10, v66, v41
	v_fmac_f32_e32 v19, v25, v49
	v_fmac_f32_e32 v0, v27, v36
	s_waitcnt vmcnt(5)
	v_mul_f32_e32 v9, v67, v52
	v_mul_f32_e32 v13, v68, v52
	v_fma_f32 v11, v66, v40, -v7
	v_fmac_f32_e32 v3, v57, v38
	v_fmac_f32_e32 v10, v65, v40
	s_waitcnt vmcnt(4)
	v_mul_f32_e32 v15, v70, v54
	v_fma_f32 v14, v68, v51, -v9
	v_mul_f32_e32 v7, v69, v54
	s_waitcnt vmcnt(2)
	v_mul_f32_e32 v17, v72, v76
	v_mul_f32_e32 v9, v71, v76
	s_waitcnt vmcnt(0)
	v_mul_f32_e32 v21, v74, v78
	v_mul_f32_e32 v22, v73, v78
	v_fmac_f32_e32 v13, v67, v51
	v_fmac_f32_e32 v15, v69, v53
	v_fma_f32 v16, v70, v53, -v7
	v_fmac_f32_e32 v17, v71, v75
	v_fma_f32 v18, v72, v75, -v9
	;; [unrolled: 2-line block ×3, first 2 shown]
	v_fma_f32 v9, v12, v2, -v81
	ds_write2_b64 v42, v[19:20], v[5:6] offset0:35 offset1:40
	ds_write2_b64 v42, v[0:1], v[3:4] offset0:45 offset1:50
	;; [unrolled: 1-line block ×5, first 2 shown]
.LBB0_3:
	s_or_b32 exec_lo, exec_lo, s1
	s_clause 0x1
	s_load_dwordx2 s[0:1], s[4:5], 0x20
	s_load_dwordx2 s[4:5], s[4:5], 0x8
	v_mov_b32_e32 v16, 0
	v_mov_b32_e32 v17, 0
	s_waitcnt lgkmcnt(0)
	s_barrier
	buffer_gl0_inv
                                        ; implicit-def: $vgpr29
                                        ; implicit-def: $vgpr9
                                        ; implicit-def: $vgpr23
                                        ; implicit-def: $vgpr35
                                        ; implicit-def: $vgpr43
                                        ; implicit-def: $vgpr46
                                        ; implicit-def: $vgpr50
                                        ; implicit-def: $vgpr54
	s_and_saveexec_b32 s2, vcc_lo
	s_cbranch_execz .LBB0_5
; %bb.4:
	v_lshl_add_u32 v0, v62, 3, v60
	ds_read2_b64 v[16:19], v0 offset1:5
	ds_read2_b64 v[52:55], v0 offset0:10 offset1:15
	ds_read2_b64 v[48:51], v0 offset0:20 offset1:25
	;; [unrolled: 1-line block ×7, first 2 shown]
	ds_read_b64 v[8:9], v0 offset:640
.LBB0_5:
	s_or_b32 exec_lo, exec_lo, s2
	s_waitcnt lgkmcnt(0)
	v_sub_f32_e32 v13, v19, v9
	v_add_f32_e32 v74, v8, v18
	v_sub_f32_e32 v12, v18, v8
	v_sub_f32_e32 v37, v53, v23
	v_add_f32_e32 v75, v9, v19
	v_mul_f32_e32 v67, 0xbeb8f4ab, v13
	v_add_f32_e32 v77, v22, v52
	v_sub_f32_e32 v36, v52, v22
	v_mul_f32_e32 v69, 0xbeb8f4ab, v12
	v_mul_f32_e32 v66, 0xbf2c7751, v37
	v_fmamk_f32 v0, v74, 0x3f6eb680, v67
	v_sub_f32_e32 v39, v55, v21
	v_add_f32_e32 v78, v23, v53
	v_mul_f32_e32 v68, 0xbf2c7751, v36
	v_fma_f32 v1, 0x3f6eb680, v75, -v69
	v_fmamk_f32 v2, v77, 0x3f3d2fb0, v66
	v_add_f32_e32 v0, v0, v16
	v_sub_f32_e32 v38, v54, v20
	v_add_f32_e32 v81, v20, v54
	v_mul_f32_e32 v70, 0xbf65296c, v39
	v_sub_f32_e32 v65, v49, v35
	v_fma_f32 v3, 0x3f3d2fb0, v78, -v68
	v_add_f32_e32 v1, v1, v17
	v_add_f32_e32 v0, v2, v0
	;; [unrolled: 1-line block ×3, first 2 shown]
	v_mul_f32_e32 v71, 0xbf65296c, v38
	v_fmamk_f32 v2, v81, 0x3ee437d1, v70
	v_sub_f32_e32 v93, v48, v34
	v_add_f32_e32 v86, v34, v48
	v_mul_f32_e32 v72, 0xbf7ee86f, v65
	v_sub_f32_e32 v112, v51, v33
	v_add_f32_e32 v1, v3, v1
	v_fma_f32 v3, 0x3ee437d1, v82, -v71
	v_add_f32_e32 v87, v35, v49
	v_mul_f32_e32 v73, 0xbf7ee86f, v93
	v_add_f32_e32 v0, v2, v0
	v_fmamk_f32 v2, v86, 0x3dbcf732, v72
	v_add_f32_e32 v89, v32, v50
	v_mul_f32_e32 v76, 0xbf763a35, v112
	v_sub_f32_e32 v113, v50, v32
	v_sub_f32_e32 v117, v45, v43
	v_add_f32_e32 v1, v3, v1
	v_fma_f32 v3, 0x3dbcf732, v87, -v73
	v_add_f32_e32 v0, v2, v0
	v_fmamk_f32 v2, v89, 0xbe8c1d8e, v76
	v_add_f32_e32 v94, v33, v51
	v_mul_f32_e32 v80, 0xbf763a35, v113
	v_add_f32_e32 v92, v42, v44
	v_mul_f32_e32 v79, 0xbf4c4adb, v117
	v_sub_f32_e32 v122, v44, v42
	v_sub_f32_e32 v127, v47, v41
	v_add_f32_e32 v1, v3, v1
	v_add_f32_e32 v0, v2, v0
	v_fma_f32 v2, 0xbe8c1d8e, v94, -v80
	v_fmamk_f32 v3, v92, 0xbf1a4643, v79
	v_add_f32_e32 v114, v43, v45
	v_mul_f32_e32 v84, 0xbf4c4adb, v122
	v_add_f32_e32 v108, v40, v46
	v_mul_f32_e32 v83, 0xbf06c442, v127
	v_sub_f32_e32 v128, v46, v40
	v_add_f32_e32 v1, v2, v1
	v_fma_f32 v2, 0xbf1a4643, v114, -v84
	v_add_f32_e32 v0, v3, v0
	v_fmamk_f32 v3, v108, 0xbf59a7d5, v83
	v_add_f32_e32 v111, v41, v47
	v_mul_f32_e32 v85, 0xbf06c442, v128
	v_add_f32_e32 v135, v28, v30
	v_mul_f32_e32 v98, 0xbf2c7751, v13
	v_add_f32_e32 v1, v2, v1
	v_add_f32_e32 v0, v3, v0
	v_fma_f32 v2, 0xbf59a7d5, v111, -v85
	v_sub_f32_e32 v115, v29, v31
	v_mul_f32_e32 v88, 0xbf7ba420, v135
	v_fmamk_f32 v3, v74, 0x3f3d2fb0, v98
	v_mul_f32_e32 v99, 0xbf7ee86f, v37
	v_mul_f32_e32 v106, 0xbf2c7751, v12
	v_add_f32_e32 v1, v2, v1
	v_fmamk_f32 v2, v115, 0xbe3c28d5, v88
	v_add_f32_e32 v3, v3, v16
	v_fmamk_f32 v4, v77, 0x3dbcf732, v99
	v_fma_f32 v5, 0x3f3d2fb0, v75, -v106
	v_mul_f32_e32 v109, 0xbf7ee86f, v36
	v_mul_f32_e32 v100, 0xbf4c4adb, v39
	v_add_f32_e32 v57, v2, v0
	v_add_f32_e32 v0, v4, v3
	;; [unrolled: 1-line block ×3, first 2 shown]
	v_fma_f32 v3, 0x3dbcf732, v78, -v109
	v_fmamk_f32 v4, v81, 0xbf1a4643, v100
	v_mul_f32_e32 v104, 0xbf4c4adb, v38
	v_mul_f32_e32 v102, 0xbe3c28d5, v65
	;; [unrolled: 1-line block ×3, first 2 shown]
	v_add_f32_e32 v2, v3, v2
	v_add_f32_e32 v0, v4, v0
	v_fma_f32 v3, 0xbf1a4643, v82, -v104
	v_fmamk_f32 v4, v86, 0xbf7ba420, v102
	v_mul_f32_e32 v103, 0x3f06c442, v112
	v_mul_f32_e32 v107, 0x3f06c442, v113
	;; [unrolled: 1-line block ×3, first 2 shown]
	v_add_f32_e32 v2, v3, v2
	v_add_f32_e32 v0, v4, v0
	v_fma_f32 v3, 0xbf7ba420, v87, -v105
	v_fmamk_f32 v4, v89, 0xbf59a7d5, v103
	v_sub_f32_e32 v138, v28, v30
	v_mul_f32_e32 v110, 0x3f763a35, v122
	v_mul_f32_e32 v123, 0xbf65296c, v13
	v_add_f32_e32 v2, v3, v2
	v_fma_f32 v3, 0xbf59a7d5, v94, -v107
	v_add_f32_e32 v0, v4, v0
	v_fmamk_f32 v4, v92, 0xbe8c1d8e, v91
	v_add_f32_e32 v116, v29, v31
	v_mul_f32_e32 v90, 0xbe3c28d5, v138
	v_add_f32_e32 v2, v3, v2
	v_fma_f32 v3, 0xbe8c1d8e, v114, -v110
	v_add_f32_e32 v0, v4, v0
	v_mul_f32_e32 v95, 0x3f65296c, v127
	v_mul_f32_e32 v97, 0x3f65296c, v128
	v_fmamk_f32 v4, v74, 0x3ee437d1, v123
	v_mul_f32_e32 v124, 0xbf4c4adb, v37
	v_fma_f32 v5, 0xbf7ba420, v116, -v90
	v_add_f32_e32 v2, v3, v2
	v_fmamk_f32 v3, v108, 0x3ee437d1, v95
	v_fma_f32 v6, 0x3ee437d1, v111, -v97
	v_add_f32_e32 v4, v4, v16
	v_fmamk_f32 v7, v77, 0xbf1a4643, v124
	v_mul_f32_e32 v125, 0x3e3c28d5, v39
	v_mul_f32_e32 v130, 0xbf65296c, v12
	v_add_f32_e32 v58, v5, v1
	v_add_f32_e32 v0, v3, v0
	;; [unrolled: 1-line block ×4, first 2 shown]
	v_fmamk_f32 v3, v81, 0xbf7ba420, v125
	v_mul_f32_e32 v118, 0x3f763a35, v65
	v_fma_f32 v5, 0x3ee437d1, v75, -v130
	v_mul_f32_e32 v131, 0xbf4c4adb, v36
	v_mul_f32_e32 v119, 0x3f2c7751, v112
	v_add_f32_e32 v2, v3, v2
	v_fmamk_f32 v3, v86, 0xbe8c1d8e, v118
	v_add_f32_e32 v5, v5, v17
	v_fma_f32 v6, 0xbf1a4643, v78, -v131
	v_mul_f32_e32 v132, 0x3e3c28d5, v38
	v_mul_f32_e32 v96, 0x3f6eb680, v135
	v_add_f32_e32 v2, v3, v2
	v_fmamk_f32 v3, v89, 0x3f3d2fb0, v119
	v_mul_f32_e32 v120, 0xbeb8f4ab, v117
	v_add_f32_e32 v5, v6, v5
	v_fma_f32 v6, 0xbf7ba420, v82, -v132
	v_mul_f32_e32 v133, 0x3f763a35, v93
	v_mul_f32_e32 v101, 0x3eb8f4ab, v138
	v_fmamk_f32 v4, v115, 0x3eb8f4ab, v96
	v_add_f32_e32 v2, v3, v2
	v_fmamk_f32 v3, v92, 0x3f6eb680, v120
	v_mul_f32_e32 v121, 0xbf7ee86f, v127
	v_add_f32_e32 v5, v6, v5
	v_fma_f32 v6, 0xbe8c1d8e, v87, -v133
	v_mul_f32_e32 v134, 0x3f2c7751, v113
	v_fma_f32 v7, 0x3f6eb680, v116, -v101
	v_add_f32_e32 v3, v3, v2
	v_fmamk_f32 v10, v108, 0x3dbcf732, v121
	v_add_f32_e32 v2, v4, v0
	v_mul_f32_e32 v126, 0xbf59a7d5, v135
	v_add_f32_e32 v4, v6, v5
	v_fma_f32 v5, 0x3f3d2fb0, v94, -v134
	v_mul_f32_e32 v129, 0xbeb8f4ab, v122
	v_mul_f32_e32 v141, 0xbf7ee86f, v13
	v_add_f32_e32 v0, v10, v3
	v_fmamk_f32 v6, v115, 0xbf06c442, v126
	v_add_f32_e32 v3, v7, v1
	v_add_f32_e32 v1, v5, v4
	v_fma_f32 v4, 0x3f6eb680, v114, -v129
	v_fmamk_f32 v5, v74, 0x3dbcf732, v141
	v_mul_f32_e32 v142, 0xbe3c28d5, v37
	v_mul_f32_e32 v150, 0xbf7ee86f, v12
	v_add_f32_e32 v0, v6, v0
	v_add_f32_e32 v1, v4, v1
	v_mul_f32_e32 v136, 0xbf7ee86f, v128
	v_add_f32_e32 v4, v5, v16
	v_fmamk_f32 v5, v77, 0xbf7ba420, v142
	v_fma_f32 v6, 0x3dbcf732, v75, -v150
	v_mul_f32_e32 v151, 0xbe3c28d5, v36
	v_mul_f32_e32 v139, 0x3f763a35, v39
	v_fma_f32 v7, 0x3dbcf732, v111, -v136
	v_add_f32_e32 v4, v5, v4
	v_add_f32_e32 v5, v6, v17
	v_fma_f32 v6, 0xbf7ba420, v78, -v151
	v_fmamk_f32 v10, v81, 0xbe8c1d8e, v139
	v_mul_f32_e32 v153, 0x3f763a35, v38
	v_mul_f32_e32 v140, 0x3eb8f4ab, v65
	v_add_f32_e32 v1, v7, v1
	v_add_f32_e32 v5, v6, v5
	;; [unrolled: 1-line block ×3, first 2 shown]
	v_fma_f32 v6, 0xbe8c1d8e, v82, -v153
	v_fmamk_f32 v7, v86, 0x3f6eb680, v140
	v_mul_f32_e32 v148, 0x3eb8f4ab, v93
	v_mul_f32_e32 v143, 0xbf65296c, v112
	;; [unrolled: 1-line block ×3, first 2 shown]
	v_add_f32_e32 v5, v6, v5
	v_add_f32_e32 v4, v7, v4
	v_fma_f32 v6, 0x3f6eb680, v87, -v148
	v_fmamk_f32 v7, v89, 0x3ee437d1, v143
	v_mul_f32_e32 v146, 0xbf65296c, v113
	v_mul_f32_e32 v145, 0xbf06c442, v117
	v_fma_f32 v10, 0xbf59a7d5, v116, -v137
	v_add_f32_e32 v5, v6, v5
	v_add_f32_e32 v4, v7, v4
	v_fma_f32 v6, 0x3ee437d1, v94, -v146
	v_mul_f32_e32 v147, 0xbf06c442, v122
	v_fmamk_f32 v7, v92, 0xbf59a7d5, v145
	v_mul_f32_e32 v144, 0x3f4c4adb, v127
	v_add_f32_e32 v1, v10, v1
	v_add_f32_e32 v5, v6, v5
	v_fma_f32 v6, 0xbf59a7d5, v114, -v147
	v_add_f32_e32 v4, v7, v4
	v_fmamk_f32 v7, v108, 0xbf1a4643, v144
	v_mul_f32_e32 v149, 0x3f4c4adb, v128
	v_mul_f32_e32 v10, 0xbf763a35, v13
	;; [unrolled: 1-line block ×3, first 2 shown]
	v_add_f32_e32 v5, v6, v5
	v_add_f32_e32 v4, v7, v4
	v_fma_f32 v6, 0xbf1a4643, v111, -v149
	v_fma_f32 v7, 0xbe8c1d8e, v74, -v10
	v_mul_f32_e32 v14, 0x3f06c442, v37
	v_fmamk_f32 v15, v75, 0xbe8c1d8e, v11
	v_mul_f32_e32 v24, 0x3f06c442, v36
	v_add_f32_e32 v5, v6, v5
	v_add_f32_e32 v6, v7, v16
	v_fma_f32 v7, 0xbf59a7d5, v77, -v14
	v_add_f32_e32 v15, v15, v17
	v_fmamk_f32 v25, v78, 0xbf59a7d5, v24
	v_mul_f32_e32 v26, 0x3f2c7751, v39
	v_mul_f32_e32 v27, 0x3f2c7751, v38
	v_add_f32_e32 v6, v7, v6
	v_mul_f32_e32 v155, 0xbf65296c, v65
	v_add_f32_e32 v7, v25, v15
	v_fma_f32 v15, 0x3f3d2fb0, v81, -v26
	v_fmamk_f32 v25, v82, 0x3f3d2fb0, v27
	v_mul_f32_e32 v156, 0xbf65296c, v93
	v_mul_f32_e32 v157, 0xbe3c28d5, v112
	v_fmac_f32_e32 v10, 0xbe8c1d8e, v74
	v_add_f32_e32 v6, v15, v6
	v_fma_f32 v15, 0x3ee437d1, v86, -v155
	v_mul_f32_e32 v152, 0x3f3d2fb0, v135
	v_add_f32_e32 v7, v25, v7
	v_fmamk_f32 v25, v87, 0x3ee437d1, v156
	v_mul_f32_e32 v158, 0xbe3c28d5, v113
	v_add_f32_e32 v6, v15, v6
	v_fma_f32 v15, 0xbf7ba420, v89, -v157
	v_mul_f32_e32 v160, 0x3f7ee86f, v117
	v_fma_f32 v11, 0xbe8c1d8e, v75, -v11
	v_add_f32_e32 v10, v10, v16
	v_fmac_f32_e32 v14, 0xbf59a7d5, v77
	v_mul_f32_e32 v154, 0x3f2c7751, v138
	v_fmamk_f32 v159, v115, 0x3f2c7751, v152
	v_add_f32_e32 v7, v25, v7
	v_fmamk_f32 v25, v94, 0xbf7ba420, v158
	v_mul_f32_e32 v161, 0x3f7ee86f, v122
	v_add_f32_e32 v15, v15, v6
	v_fma_f32 v163, 0x3dbcf732, v92, -v160
	v_add_f32_e32 v11, v11, v17
	v_fma_f32 v24, 0xbf59a7d5, v78, -v24
	v_add_f32_e32 v10, v14, v10
	v_fmac_f32_e32 v26, 0x3f3d2fb0, v81
	v_fma_f32 v162, 0x3f3d2fb0, v116, -v154
	v_add_f32_e32 v25, v25, v7
	v_fmamk_f32 v164, v114, 0x3dbcf732, v161
	v_add_f32_e32 v6, v159, v4
	v_add_f32_e32 v4, v163, v15
	v_mul_f32_e32 v15, 0xbeb8f4ab, v127
	v_add_f32_e32 v11, v24, v11
	v_fma_f32 v24, 0x3f3d2fb0, v82, -v27
	v_add_f32_e32 v10, v26, v10
	v_fmac_f32_e32 v155, 0x3ee437d1, v86
	v_add_f32_e32 v7, v162, v5
	v_add_f32_e32 v5, v164, v25
	v_mul_f32_e32 v25, 0xbeb8f4ab, v128
	v_fma_f32 v159, 0x3f6eb680, v108, -v15
	v_add_f32_e32 v11, v24, v11
	v_mul_f32_e32 v24, 0xbf1a4643, v135
	v_add_f32_e32 v10, v155, v10
	v_fmac_f32_e32 v157, 0xbf7ba420, v89
	v_fmamk_f32 v14, v111, 0x3f6eb680, v25
	v_add_f32_e32 v4, v159, v4
	v_fmamk_f32 v27, v115, 0x3f4c4adb, v24
	v_fmac_f32_e32 v160, 0x3dbcf732, v92
	v_add_f32_e32 v155, v157, v10
	v_add_f32_e32 v5, v14, v5
	v_fma_f32 v14, 0x3ee437d1, v87, -v156
	v_mul_f32_e32 v26, 0xbf4c4adb, v138
	v_add_f32_e32 v10, v27, v4
	v_add_f32_e32 v4, v160, v155
	v_fmac_f32_e32 v15, 0x3f6eb680, v108
	v_add_f32_e32 v11, v14, v11
	v_fma_f32 v14, 0xbf7ba420, v94, -v158
	v_fmamk_f32 v156, v116, 0xbf1a4643, v26
	v_fma_f32 v157, 0x3dbcf732, v114, -v161
	v_add_f32_e32 v4, v15, v4
	v_mul_f32_e32 v15, 0xbf4c4adb, v12
	v_add_f32_e32 v14, v14, v11
	v_add_f32_e32 v11, v156, v5
	v_mul_f32_e32 v156, 0x3f763a35, v36
	v_mul_f32_e32 v160, 0xbeb8f4ab, v38
	v_fmamk_f32 v155, v75, 0xbf1a4643, v15
	v_add_f32_e32 v5, v157, v14
	v_fma_f32 v14, 0x3f6eb680, v111, -v25
	v_mul_f32_e32 v25, 0xbf4c4adb, v13
	v_fmamk_f32 v159, v78, 0xbe8c1d8e, v156
	v_add_f32_e32 v155, v155, v17
	v_mul_f32_e32 v27, 0x3f763a35, v37
	v_add_f32_e32 v5, v14, v5
	v_fma_f32 v14, 0xbf1a4643, v74, -v25
	v_mul_f32_e32 v162, 0xbf06c442, v93
	v_add_f32_e32 v155, v159, v155
	v_fmamk_f32 v159, v82, 0x3f6eb680, v160
	v_fma_f32 v157, 0xbe8c1d8e, v77, -v27
	v_add_f32_e32 v14, v14, v16
	v_mul_f32_e32 v158, 0xbeb8f4ab, v39
	v_mul_f32_e32 v164, 0x3f7ee86f, v113
	v_add_f32_e32 v155, v159, v155
	v_fmamk_f32 v159, v87, 0xbf59a7d5, v162
	v_fmac_f32_e32 v24, 0xbf4c4adb, v115
	v_add_f32_e32 v14, v157, v14
	v_fma_f32 v157, 0x3f6eb680, v81, -v158
	v_mul_f32_e32 v161, 0xbf06c442, v65
	v_add_f32_e32 v155, v159, v155
	v_fmamk_f32 v159, v94, 0x3dbcf732, v164
	v_mul_f32_e32 v166, 0xbf2c7751, v122
	v_add_f32_e32 v14, v157, v14
	v_fma_f32 v157, 0xbf59a7d5, v86, -v161
	v_mul_f32_e32 v163, 0x3f7ee86f, v112
	v_add_f32_e32 v4, v24, v4
	v_add_f32_e32 v24, v159, v155
	v_fmamk_f32 v155, v114, 0x3f3d2fb0, v166
	v_fmac_f32_e32 v25, 0xbf1a4643, v74
	v_fma_f32 v26, 0xbf1a4643, v116, -v26
	v_add_f32_e32 v14, v157, v14
	v_fma_f32 v157, 0x3dbcf732, v89, -v163
	v_mul_f32_e32 v165, 0xbf2c7751, v117
	v_add_f32_e32 v24, v155, v24
	v_mul_f32_e32 v155, 0xbe3c28d5, v128
	v_fma_f32 v15, 0xbf1a4643, v75, -v15
	v_add_f32_e32 v25, v25, v16
	v_fmac_f32_e32 v27, 0xbe8c1d8e, v77
	v_add_f32_e32 v14, v157, v14
	v_fma_f32 v157, 0x3f3d2fb0, v92, -v165
	v_add_f32_e32 v5, v26, v5
	v_mul_f32_e32 v26, 0xbe3c28d5, v127
	v_fmamk_f32 v159, v111, 0xbf7ba420, v155
	v_add_f32_e32 v15, v15, v17
	v_fma_f32 v156, 0xbe8c1d8e, v78, -v156
	v_add_f32_e32 v25, v27, v25
	v_fmac_f32_e32 v158, 0x3f6eb680, v81
	v_add_f32_e32 v14, v157, v14
	v_fma_f32 v157, 0xbf7ba420, v108, -v26
	v_add_f32_e32 v27, v159, v24
	v_add_f32_e32 v15, v156, v15
	v_fma_f32 v24, 0x3f6eb680, v82, -v160
	v_mul_f32_e32 v156, 0x3ee437d1, v135
	v_add_f32_e32 v25, v158, v25
	v_fmac_f32_e32 v161, 0xbf59a7d5, v86
	v_add_f32_e32 v14, v157, v14
	v_mul_f32_e32 v157, 0x3f65296c, v138
	v_add_f32_e32 v15, v24, v15
	v_fma_f32 v24, 0xbf59a7d5, v87, -v162
	v_fmamk_f32 v158, v115, 0xbf65296c, v156
	v_add_f32_e32 v25, v161, v25
	v_fmac_f32_e32 v163, 0x3dbcf732, v89
	v_fmamk_f32 v159, v116, 0x3ee437d1, v157
	v_add_f32_e32 v15, v24, v15
	v_fma_f32 v160, 0x3dbcf732, v94, -v164
	v_add_f32_e32 v24, v158, v14
	v_add_f32_e32 v14, v163, v25
	v_fmac_f32_e32 v165, 0x3f3d2fb0, v92
	v_mul_f32_e32 v158, 0xbf06c442, v13
	v_add_f32_e32 v15, v160, v15
	v_fma_f32 v160, 0x3f3d2fb0, v114, -v166
	v_add_f32_e32 v25, v159, v27
	v_add_f32_e32 v14, v165, v14
	v_fma_f32 v27, 0xbf59a7d5, v74, -v158
	v_mul_f32_e32 v159, 0x3f65296c, v37
	v_fmac_f32_e32 v26, 0xbf7ba420, v108
	v_add_f32_e32 v15, v160, v15
	v_fma_f32 v155, 0xbf7ba420, v111, -v155
	v_add_f32_e32 v27, v27, v16
	v_fma_f32 v160, 0x3ee437d1, v77, -v159
	v_mul_f32_e32 v161, 0xbf7ee86f, v39
	v_add_f32_e32 v14, v26, v14
	v_fmac_f32_e32 v156, 0x3f65296c, v115
	v_add_f32_e32 v15, v155, v15
	v_add_f32_e32 v26, v160, v27
	v_fma_f32 v27, 0x3dbcf732, v81, -v161
	v_mul_f32_e32 v155, 0x3f4c4adb, v65
	v_fma_f32 v157, 0x3ee437d1, v116, -v157
	v_add_f32_e32 v14, v156, v14
	v_mul_f32_e32 v156, 0xbf06c442, v12
	v_add_f32_e32 v26, v27, v26
	v_fma_f32 v27, 0xbf1a4643, v86, -v155
	v_mul_f32_e32 v160, 0xbeb8f4ab, v112
	v_add_f32_e32 v15, v157, v15
	v_fmamk_f32 v157, v75, 0xbf59a7d5, v156
	v_mul_f32_e32 v162, 0x3f65296c, v36
	v_add_f32_e32 v26, v27, v26
	v_fma_f32 v27, 0x3f6eb680, v89, -v160
	v_mul_f32_e32 v163, 0xbe3c28d5, v117
	v_add_f32_e32 v157, v157, v17
	v_fmamk_f32 v164, v78, 0x3ee437d1, v162
	;; [unrolled: 6-line block ×3, first 2 shown]
	v_mul_f32_e32 v167, 0x3f4c4adb, v93
	v_fmac_f32_e32 v158, 0xbf59a7d5, v74
	v_add_f32_e32 v26, v27, v26
	v_fma_f32 v27, 0x3f3d2fb0, v108, -v166
	v_add_f32_e32 v157, v164, v157
	v_fmamk_f32 v164, v87, 0xbf1a4643, v167
	v_mul_f32_e32 v168, 0xbeb8f4ab, v113
	v_add_f32_e32 v158, v158, v16
	v_fmac_f32_e32 v159, 0x3ee437d1, v77
	v_mul_f32_e32 v169, 0xbe8c1d8e, v135
	v_add_f32_e32 v157, v164, v157
	v_fmamk_f32 v164, v94, 0x3f6eb680, v168
	v_mul_f32_e32 v170, 0xbe3c28d5, v122
	v_add_f32_e32 v158, v159, v158
	v_fmac_f32_e32 v161, 0x3dbcf732, v81
	v_add_f32_e32 v26, v27, v26
	v_fmamk_f32 v27, v115, 0x3f763a35, v169
	v_add_f32_e32 v157, v164, v157
	v_fmamk_f32 v159, v114, 0xbf7ba420, v170
	v_add_f32_e32 v158, v161, v158
	v_fmac_f32_e32 v155, 0xbf1a4643, v86
	v_add_f32_e32 v26, v27, v26
	v_fma_f32 v27, 0xbf59a7d5, v75, -v156
	v_add_f32_e32 v156, v159, v157
	v_mul_f32_e32 v157, 0x3f2c7751, v128
	v_add_f32_e32 v155, v155, v158
	v_fmac_f32_e32 v160, 0x3f6eb680, v89
	v_add_f32_e32 v27, v27, v17
	v_fma_f32 v158, 0x3ee437d1, v78, -v162
	v_fmamk_f32 v159, v111, 0x3f3d2fb0, v157
	v_mul_f32_e32 v161, 0xbf763a35, v138
	v_add_f32_e32 v155, v160, v155
	v_fmac_f32_e32 v163, 0xbf7ba420, v92
	v_add_f32_e32 v27, v158, v27
	v_fma_f32 v158, 0x3dbcf732, v82, -v165
	v_add_f32_e32 v156, v159, v156
	v_fmamk_f32 v159, v116, 0xbe8c1d8e, v161
	v_add_f32_e32 v155, v163, v155
	v_fmac_f32_e32 v166, 0x3f3d2fb0, v108
	v_add_f32_e32 v158, v158, v27
	v_fma_f32 v160, 0xbf1a4643, v87, -v167
	v_mul_f32_e32 v13, 0xbe3c28d5, v13
	v_add_f32_e32 v27, v159, v156
	v_add_f32_e32 v155, v166, v155
	v_fmac_f32_e32 v169, 0xbf763a35, v115
	v_add_f32_e32 v156, v160, v158
	v_fma_f32 v158, 0x3f6eb680, v94, -v168
	v_fma_f32 v159, 0xbf7ba420, v74, -v13
	v_mul_f32_e32 v37, 0x3eb8f4ab, v37
	v_mul_f32_e32 v160, 0xbe3c28d5, v12
	v_add_f32_e32 v12, v169, v155
	v_add_f32_e32 v155, v158, v156
	;; [unrolled: 1-line block ×3, first 2 shown]
	v_fma_f32 v158, 0x3f6eb680, v77, -v37
	v_fmamk_f32 v159, v75, 0xbf7ba420, v160
	v_mul_f32_e32 v36, 0x3eb8f4ab, v36
	v_mul_f32_e32 v38, 0xbf06c442, v38
	;; [unrolled: 1-line block ×3, first 2 shown]
	v_add_f32_e32 v156, v158, v156
	v_add_f32_e32 v158, v159, v17
	v_fmamk_f32 v159, v78, 0x3f6eb680, v36
	v_mul_f32_e32 v113, 0xbf4c4adb, v113
	v_fmac_f32_e32 v13, 0xbf7ba420, v74
	v_mul_f32_e32 v39, 0xbf06c442, v39
	v_fmac_f32_e32 v37, 0x3f6eb680, v77
	v_add_f32_e32 v158, v159, v158
	v_fmamk_f32 v159, v82, 0xbf59a7d5, v38
	v_add_f32_e32 v13, v13, v16
	v_fma_f32 v36, 0x3f6eb680, v78, -v36
	v_fma_f32 v162, 0xbf7ba420, v114, -v170
	v_fma_f32 v163, 0xbf59a7d5, v81, -v39
	v_add_f32_e32 v158, v159, v158
	v_fmamk_f32 v159, v87, 0x3f3d2fb0, v93
	v_mul_f32_e32 v65, 0x3f2c7751, v65
	v_add_f32_e32 v13, v37, v13
	v_fmac_f32_e32 v39, 0xbf59a7d5, v81
	v_fma_f32 v37, 0xbf59a7d5, v82, -v38
	v_add_f32_e32 v158, v159, v158
	v_fmamk_f32 v159, v94, 0xbf1a4643, v113
	v_add_f32_e32 v155, v162, v155
	v_add_f32_e32 v156, v163, v156
	v_fma_f32 v162, 0x3f3d2fb0, v86, -v65
	v_fma_f32 v157, 0x3f3d2fb0, v111, -v157
	v_add_f32_e32 v158, v159, v158
	v_fma_f32 v159, 0xbf7ba420, v75, -v160
	v_mul_f32_e32 v112, 0xbf4c4adb, v112
	v_mul_f32_e32 v122, 0x3f65296c, v122
	v_add_f32_e32 v13, v39, v13
	v_fmac_f32_e32 v65, 0x3f3d2fb0, v86
	v_add_f32_e32 v159, v159, v17
	v_add_f32_e32 v156, v162, v156
	v_fma_f32 v162, 0xbf1a4643, v89, -v112
	v_add_f32_e32 v155, v157, v155
	v_fma_f32 v157, 0xbe8c1d8e, v116, -v161
	v_add_f32_e32 v36, v36, v159
	v_mul_f32_e32 v117, 0x3f65296c, v117
	v_fmamk_f32 v161, v114, 0x3ee437d1, v122
	v_mul_f32_e32 v38, 0xbf763a35, v127
	v_mul_f32_e32 v127, 0xbf763a35, v128
	v_add_f32_e32 v36, v37, v36
	v_fma_f32 v37, 0x3f3d2fb0, v87, -v93
	v_add_f32_e32 v13, v65, v13
	v_fmac_f32_e32 v112, 0xbf1a4643, v89
	v_add_f32_e32 v156, v162, v156
	v_fma_f32 v160, 0x3ee437d1, v92, -v117
	v_add_f32_e32 v36, v37, v36
	v_fma_f32 v37, 0xbf1a4643, v94, -v113
	v_add_f32_e32 v158, v161, v158
	v_fmamk_f32 v93, v111, 0xbe8c1d8e, v127
	v_add_f32_e32 v13, v112, v13
	v_fmac_f32_e32 v117, 0x3ee437d1, v92
	v_add_f32_e32 v36, v37, v36
	v_fma_f32 v37, 0x3ee437d1, v114, -v122
	v_add_f32_e32 v156, v160, v156
	v_fma_f32 v39, 0xbe8c1d8e, v108, -v38
	v_add_f32_e32 v65, v93, v158
	v_mul_f32_e32 v93, 0x3dbcf732, v135
	v_mul_f32_e32 v112, 0x3f7ee86f, v138
	v_add_f32_e32 v13, v117, v13
	v_fmac_f32_e32 v38, 0xbe8c1d8e, v108
	v_add_f32_e32 v36, v37, v36
	v_fma_f32 v37, 0xbe8c1d8e, v111, -v127
	v_add_f32_e32 v39, v39, v156
	v_fmamk_f32 v113, v115, 0xbf7ee86f, v93
	v_fmamk_f32 v117, v116, 0x3dbcf732, v112
	v_add_f32_e32 v38, v38, v13
	v_fmac_f32_e32 v93, 0x3f7ee86f, v115
	v_add_f32_e32 v122, v37, v36
	v_fma_f32 v112, 0x3dbcf732, v116, -v112
	v_add_f32_e32 v13, v157, v155
	v_add_f32_e32 v36, v113, v39
	;; [unrolled: 1-line block ×5, first 2 shown]
	v_mul_lo_u16 v65, v63, 17
	s_barrier
	buffer_gl0_inv
	s_and_saveexec_b32 s2, vcc_lo
	s_cbranch_execz .LBB0_7
; %bb.6:
	v_mul_f32_e32 v112, 0x3f6eb680, v75
	v_mul_f32_e32 v117, 0x3f3d2fb0, v75
	;; [unrolled: 1-line block ×8, first 2 shown]
	v_add_f32_e32 v75, v150, v75
	v_mul_f32_e32 v93, 0x3f6eb680, v74
	v_mul_f32_e32 v113, 0x3f3d2fb0, v74
	;; [unrolled: 1-line block ×8, first 2 shown]
	v_add_f32_e32 v75, v75, v17
	v_add_f32_e32 v78, v151, v78
	v_mul_f32_e32 v128, 0x3f3d2fb0, v77
	v_mul_f32_e32 v138, 0x3dbcf732, v77
	;; [unrolled: 1-line block ×8, first 2 shown]
	v_add_f32_e32 v75, v78, v75
	v_add_f32_e32 v78, v153, v82
	v_sub_f32_e32 v74, v74, v141
	v_mul_f32_e32 v158, 0x3ee437d1, v81
	v_mul_f32_e32 v160, 0xbf1a4643, v81
	;; [unrolled: 1-line block ×11, first 2 shown]
	v_add_f32_e32 v75, v78, v75
	v_add_f32_e32 v78, v148, v87
	;; [unrolled: 1-line block ×3, first 2 shown]
	v_sub_f32_e32 v77, v77, v142
	v_mul_f32_e32 v87, 0x3f2c7751, v115
	v_add_f32_e32 v115, v130, v127
	v_mul_f32_e32 v164, 0x3dbcf732, v86
	v_mul_f32_e32 v166, 0xbf7ba420, v86
	;; [unrolled: 1-line block ×8, first 2 shown]
	v_add_f32_e32 v75, v78, v75
	v_add_f32_e32 v78, v146, v94
	;; [unrolled: 1-line block ×3, first 2 shown]
	v_sub_f32_e32 v77, v81, v139
	v_add_f32_e32 v81, v115, v17
	v_add_f32_e32 v94, v131, v157
	v_mul_f32_e32 v170, 0xbe8c1d8e, v89
	v_mul_f32_e32 v172, 0xbf59a7d5, v89
	;; [unrolled: 1-line block ×8, first 2 shown]
	v_add_f32_e32 v75, v78, v75
	v_add_f32_e32 v78, v147, v114
	;; [unrolled: 1-line block ×3, first 2 shown]
	v_sub_f32_e32 v77, v86, v140
	v_add_f32_e32 v81, v94, v81
	v_add_f32_e32 v86, v132, v163
	v_mul_f32_e32 v176, 0xbf1a4643, v92
	v_mul_f32_e32 v178, 0xbe8c1d8e, v92
	;; [unrolled: 1-line block ×4, first 2 shown]
	v_add_f32_e32 v75, v78, v75
	v_add_f32_e32 v78, v149, v111
	;; [unrolled: 1-line block ×3, first 2 shown]
	v_sub_f32_e32 v77, v89, v143
	v_add_f32_e32 v81, v86, v81
	v_add_f32_e32 v86, v133, v169
	v_mul_f32_e32 v182, 0xbf59a7d5, v108
	v_mul_f32_e32 v184, 0x3ee437d1, v108
	;; [unrolled: 1-line block ×5, first 2 shown]
	v_add_f32_e32 v75, v78, v75
	v_add_f32_e32 v74, v77, v74
	v_sub_f32_e32 v77, v92, v145
	v_add_f32_e32 v78, v86, v81
	v_add_f32_e32 v81, v134, v175
	;; [unrolled: 1-line block ×3, first 2 shown]
	v_sub_f32_e32 v92, v108, v144
	v_add_f32_e32 v77, v77, v74
	v_mul_f32_e32 v153, 0xbf59a7d5, v116
	v_add_f32_e32 v78, v81, v78
	v_add_f32_e32 v81, v129, v181
	;; [unrolled: 1-line block ×4, first 2 shown]
	v_sub_f32_e32 v89, v122, v123
	v_sub_f32_e32 v94, v156, v124
	v_add_f32_e32 v77, v81, v78
	v_add_f32_e32 v78, v136, v186
	;; [unrolled: 1-line block ×9, first 2 shown]
	v_sub_f32_e32 v94, v138, v99
	v_add_f32_e32 v19, v53, v19
	v_add_f32_e32 v18, v52, v18
	;; [unrolled: 1-line block ×3, first 2 shown]
	v_sub_f32_e32 v77, v113, v98
	v_sub_f32_e32 v52, v178, v91
	v_add_f32_e32 v19, v55, v19
	v_add_f32_e32 v18, v54, v18
	v_sub_f32_e32 v54, v184, v95
	v_add_f32_e32 v77, v77, v16
	v_add_f32_e32 v89, v106, v117
	;; [unrolled: 1-line block ×4, first 2 shown]
	v_sub_f32_e32 v86, v162, v125
	v_add_f32_e32 v77, v94, v77
	v_sub_f32_e32 v94, v160, v100
	v_add_f32_e32 v19, v51, v19
	v_add_f32_e32 v48, v50, v48
	v_sub_f32_e32 v51, v93, v67
	v_add_f32_e32 v89, v89, v17
	;; [unrolled: 3-line block ×3, first 2 shown]
	v_add_f32_e32 v44, v44, v48
	v_add_f32_e32 v45, v68, v135
	;; [unrolled: 1-line block ×4, first 2 shown]
	v_sub_f32_e32 v94, v172, v103
	v_add_f32_e32 v19, v47, v19
	v_add_f32_e32 v44, v46, v44
	v_sub_f32_e32 v48, v128, v66
	v_add_f32_e32 v89, v92, v89
	v_add_f32_e32 v77, v94, v77
	;; [unrolled: 1-line block ×5, first 2 shown]
	v_sub_f32_e32 v29, v158, v70
	v_add_f32_e32 v52, v52, v77
	v_add_f32_e32 v19, v31, v19
	;; [unrolled: 1-line block ×10, first 2 shown]
	v_sub_f32_e32 v29, v164, v72
	v_add_f32_e32 v17, v52, v17
	v_add_f32_e32 v19, v43, v19
	;; [unrolled: 1-line block ×4, first 2 shown]
	v_sub_f32_e32 v86, v168, v118
	v_add_f32_e32 v17, v45, v17
	v_add_f32_e32 v45, v71, v159
	v_add_f32_e32 v89, v92, v89
	v_add_f32_e32 v92, v105, v167
	v_add_f32_e32 v30, v80, v171
	v_add_f32_e32 v16, v29, v16
	v_add_f32_e32 v17, v45, v17
	v_sub_f32_e32 v29, v170, v76
	v_add_f32_e32 v19, v33, v19
	v_add_f32_e32 v28, v32, v28
	;; [unrolled: 1-line block ×4, first 2 shown]
	v_sub_f32_e32 v86, v174, v119
	v_add_f32_e32 v89, v92, v89
	v_add_f32_e32 v92, v107, v173
	;; [unrolled: 1-line block ×5, first 2 shown]
	v_sub_f32_e32 v29, v176, v79
	v_add_f32_e32 v19, v35, v19
	v_add_f32_e32 v28, v34, v28
	;; [unrolled: 1-line block ×3, first 2 shown]
	v_sub_f32_e32 v86, v180, v120
	v_add_f32_e32 v89, v92, v89
	v_add_f32_e32 v92, v110, v179
	v_mul_f32_e32 v187, 0xbf7ba420, v116
	v_add_f32_e32 v17, v30, v17
	v_add_f32_e32 v30, v85, v183
	;; [unrolled: 1-line block ×3, first 2 shown]
	v_sub_f32_e32 v29, v182, v83
	v_add_f32_e32 v19, v21, v19
	v_add_f32_e32 v20, v20, v28
	v_mul_f32_e32 v82, 0x3f6eb680, v116
	v_add_f32_e32 v81, v86, v81
	v_sub_f32_e32 v86, v185, v121
	v_add_f32_e32 v89, v92, v89
	v_add_f32_e32 v92, v97, v150
	;; [unrolled: 1-line block ×5, first 2 shown]
	v_sub_f32_e32 v28, v88, v151
	v_add_f32_e32 v23, v23, v19
	v_add_f32_e32 v22, v22, v20
	v_and_b32_e32 v29, 0xffff, v65
	v_add_f32_e32 v81, v86, v81
	v_sub_f32_e32 v86, v126, v141
	v_add_f32_e32 v53, v92, v89
	v_add_f32_e32 v82, v82, v101
	v_sub_f32_e32 v50, v96, v188
	v_sub_f32_e32 v87, v152, v87
	v_add_f32_e32 v20, v21, v17
	v_add_f32_e32 v19, v28, v16
	;; [unrolled: 1-line block ×4, first 2 shown]
	v_add_lshl_u32 v16, v62, v29, 3
	v_add_f32_e32 v77, v86, v81
	v_add_f32_e32 v18, v82, v53
	;; [unrolled: 1-line block ×4, first 2 shown]
	ds_write2_b64 v16, v[8:9], v[19:20] offset1:1
	ds_write2_b64 v16, v[17:18], v[77:78] offset0:2 offset1:3
	ds_write2_b64 v16, v[73:74], v[10:11] offset0:4 offset1:5
	;; [unrolled: 1-line block ×7, first 2 shown]
	ds_write_b64 v16, v[57:58] offset:128
.LBB0_7:
	s_or_b32 exec_lo, exec_lo, s2
	v_lshlrev_b32_e32 v8, 5, v63
	s_load_dwordx4 s[0:3], s[0:1], 0x0
	s_waitcnt lgkmcnt(0)
	s_barrier
	buffer_gl0_inv
	s_clause 0x1
	global_load_dwordx4 v[20:23], v8, s[4:5]
	global_load_dwordx4 v[16:19], v8, s[4:5] offset:16
	v_add_lshl_u32 v51, v62, v63, 3
	ds_read2_b64 v[28:31], v51 offset1:17
	ds_read2_b64 v[32:35], v51 offset0:34 offset1:51
	ds_read_b64 v[8:9], v51 offset:544
	v_lshl_add_u32 v50, v63, 3, v64
	s_waitcnt vmcnt(1) lgkmcnt(2)
	v_mul_f32_e32 v40, v31, v21
	v_mul_f32_e32 v41, v30, v21
	s_waitcnt lgkmcnt(1)
	v_mul_f32_e32 v42, v33, v23
	v_mul_f32_e32 v43, v32, v23
	s_waitcnt vmcnt(0)
	v_mul_f32_e32 v44, v35, v17
	v_mul_f32_e32 v45, v34, v17
	s_waitcnt lgkmcnt(0)
	v_mul_f32_e32 v46, v9, v19
	v_mul_f32_e32 v47, v8, v19
	v_fma_f32 v30, v30, v20, -v40
	v_fmac_f32_e32 v41, v31, v20
	v_fma_f32 v31, v32, v22, -v42
	v_fmac_f32_e32 v43, v33, v22
	;; [unrolled: 2-line block ×3, first 2 shown]
	v_fmac_f32_e32 v45, v35, v16
	v_fma_f32 v40, v8, v18, -v46
	v_add_f32_e32 v8, v28, v30
	v_add_f32_e32 v9, v31, v32
	v_sub_f32_e32 v33, v30, v31
	v_add_f32_e32 v52, v43, v45
	v_sub_f32_e32 v34, v40, v32
	v_add_f32_e32 v35, v30, v40
	v_add_f32_e32 v66, v41, v47
	v_sub_f32_e32 v42, v41, v47
	v_sub_f32_e32 v44, v43, v45
	;; [unrolled: 1-line block ×3, first 2 shown]
	v_add_f32_e32 v49, v29, v41
	v_sub_f32_e32 v53, v30, v40
	v_sub_f32_e32 v54, v31, v32
	;; [unrolled: 1-line block ×4, first 2 shown]
	v_add_f32_e32 v31, v8, v31
	v_fma_f32 v8, -0.5, v9, v28
	v_add_f32_e32 v68, v33, v34
	v_fma_f32 v34, -0.5, v35, v28
	v_fma_f32 v9, -0.5, v52, v29
	;; [unrolled: 1-line block ×3, first 2 shown]
	v_sub_f32_e32 v48, v32, v40
	v_sub_f32_e32 v41, v43, v41
	;; [unrolled: 1-line block ×3, first 2 shown]
	v_add_f32_e32 v28, v49, v43
	v_add_f32_e32 v43, v30, v55
	;; [unrolled: 1-line block ×3, first 2 shown]
	v_fmamk_f32 v30, v42, 0x3f737871, v8
	v_fmac_f32_e32 v8, 0xbf737871, v42
	v_fmamk_f32 v32, v44, 0xbf737871, v34
	v_fmac_f32_e32 v34, 0x3f737871, v44
	;; [unrolled: 2-line block ×4, first 2 shown]
	v_add_f32_e32 v46, v46, v48
	v_add_f32_e32 v41, v41, v67
	;; [unrolled: 1-line block ×3, first 2 shown]
	v_fmac_f32_e32 v30, 0x3f167918, v44
	v_fmac_f32_e32 v8, 0xbf167918, v44
	;; [unrolled: 1-line block ×8, first 2 shown]
	v_add_f32_e32 v28, v29, v40
	v_add_f32_e32 v29, v45, v47
	v_fmac_f32_e32 v30, 0x3e9e377a, v68
	v_fmac_f32_e32 v8, 0x3e9e377a, v68
	;; [unrolled: 1-line block ×8, first 2 shown]
	ds_write2_b64 v50, v[28:29], v[30:31] offset1:17
	ds_write2_b64 v50, v[32:33], v[34:35] offset0:34 offset1:51
	ds_write_b64 v50, v[8:9] offset:544
	s_waitcnt lgkmcnt(0)
	s_barrier
	buffer_gl0_inv
	s_and_saveexec_b32 s8, vcc_lo
	s_cbranch_execz .LBB0_9
; %bb.8:
	s_add_u32 s4, s6, 0x2a8
	s_addc_u32 s5, s7, 0
	s_clause 0x10
	global_load_dwordx2 v[48:49], v60, s[6:7] offset:680
	global_load_dwordx2 v[86:87], v60, s[4:5] offset:40
	;; [unrolled: 1-line block ×17, first 2 shown]
	ds_read2_b64 v[40:43], v50 offset1:5
	ds_read2_b64 v[44:47], v50 offset0:10 offset1:15
	ds_read2_b64 v[52:55], v50 offset0:20 offset1:25
	ds_read2_b64 v[66:69], v50 offset0:30 offset1:35
	ds_read2_b64 v[70:73], v50 offset0:40 offset1:45
	ds_read2_b64 v[74:77], v50 offset0:50 offset1:55
	ds_read2_b64 v[78:81], v50 offset0:60 offset1:65
	ds_read2_b64 v[82:85], v50 offset0:70 offset1:75
	ds_read_b64 v[118:119], v50 offset:640
	s_waitcnt vmcnt(16) lgkmcnt(8)
	v_mul_f32_e32 v120, v41, v49
	v_mul_f32_e32 v121, v40, v49
	s_waitcnt vmcnt(15)
	v_mul_f32_e32 v122, v43, v87
	v_mul_f32_e32 v49, v42, v87
	s_waitcnt vmcnt(14) lgkmcnt(7)
	v_mul_f32_e32 v123, v45, v89
	v_mul_f32_e32 v87, v44, v89
	s_waitcnt vmcnt(13)
	v_mul_f32_e32 v124, v47, v91
	v_mul_f32_e32 v89, v46, v91
	;; [unrolled: 6-line block ×8, first 2 shown]
	s_waitcnt vmcnt(0) lgkmcnt(0)
	v_mul_f32_e32 v137, v119, v117
	v_mul_f32_e32 v115, v118, v117
	v_fma_f32 v120, v40, v48, -v120
	v_fmac_f32_e32 v121, v41, v48
	v_fma_f32 v48, v42, v86, -v122
	v_fmac_f32_e32 v49, v43, v86
	;; [unrolled: 2-line block ×17, first 2 shown]
	ds_write2_b64 v50, v[120:121], v[48:49] offset1:5
	ds_write2_b64 v50, v[86:87], v[88:89] offset0:10 offset1:15
	ds_write2_b64 v50, v[90:91], v[92:93] offset0:20 offset1:25
	;; [unrolled: 1-line block ×7, first 2 shown]
	ds_write_b64 v50, v[114:115] offset:640
.LBB0_9:
	s_or_b32 exec_lo, exec_lo, s8
	s_waitcnt lgkmcnt(0)
	s_barrier
	buffer_gl0_inv
	s_and_saveexec_b32 s4, vcc_lo
	s_cbranch_execz .LBB0_11
; %bb.10:
	ds_read2_b64 v[28:31], v50 offset1:5
	ds_read2_b64 v[32:35], v50 offset0:10 offset1:15
	ds_read2_b64 v[8:11], v50 offset0:20 offset1:25
	;; [unrolled: 1-line block ×7, first 2 shown]
	ds_read_b64 v[57:58], v50 offset:640
.LBB0_11:
	s_or_b32 exec_lo, exec_lo, s4
	s_waitcnt lgkmcnt(0)
	s_barrier
	buffer_gl0_inv
	s_and_saveexec_b32 s4, vcc_lo
	s_cbranch_execz .LBB0_13
; %bb.12:
	v_add_f32_e32 v133, v58, v31
	v_sub_f32_e32 v67, v30, v57
	v_add_f32_e32 v131, v3, v33
	v_sub_f32_e32 v53, v32, v2
	v_add_f32_e32 v113, v1, v35
	v_mul_f32_e32 v83, 0xbf7ba420, v133
	v_sub_f32_e32 v54, v34, v0
	v_mul_f32_e32 v84, 0x3f6eb680, v131
	v_add_f32_e32 v105, v7, v9
	v_mul_f32_e32 v85, 0xbf59a7d5, v113
	v_fmamk_f32 v40, v67, 0x3e3c28d5, v83
	v_sub_f32_e32 v52, v8, v6
	v_fmamk_f32 v41, v53, 0xbeb8f4ab, v84
	v_add_f32_e32 v99, v5, v11
	v_mul_f32_e32 v86, 0x3f3d2fb0, v105
	v_add_f32_e32 v40, v29, v40
	v_fmamk_f32 v42, v54, 0x3f06c442, v85
	v_sub_f32_e32 v137, v31, v58
	v_sub_f32_e32 v55, v10, v4
	v_add_f32_e32 v100, v15, v25
	v_add_f32_e32 v40, v41, v40
	;; [unrolled: 1-line block ×3, first 2 shown]
	v_mul_f32_e32 v91, 0xbf1a4643, v99
	v_fmamk_f32 v41, v52, 0xbf2c7751, v86
	v_mul_f32_e32 v87, 0xbe3c28d5, v137
	v_add_f32_e32 v40, v42, v40
	v_sub_f32_e32 v139, v33, v3
	v_sub_f32_e32 v66, v24, v14
	v_add_f32_e32 v69, v2, v32
	v_fmamk_f32 v42, v55, 0x3f4c4adb, v91
	v_add_f32_e32 v40, v41, v40
	v_mul_f32_e32 v89, 0x3ee437d1, v100
	v_fmamk_f32 v41, v68, 0xbf7ba420, v87
	v_mul_f32_e32 v88, 0x3eb8f4ab, v139
	v_sub_f32_e32 v140, v35, v1
	v_add_f32_e32 v40, v42, v40
	v_fmamk_f32 v42, v66, 0xbf65296c, v89
	v_add_f32_e32 v41, v28, v41
	v_fmamk_f32 v43, v69, 0x3f6eb680, v88
	v_add_f32_e32 v71, v0, v34
	v_mul_f32_e32 v82, 0xbf06c442, v140
	v_sub_f32_e32 v141, v9, v7
	v_add_f32_e32 v40, v42, v40
	v_add_f32_e32 v41, v43, v41
	;; [unrolled: 1-line block ×3, first 2 shown]
	v_fmamk_f32 v42, v71, 0xbf59a7d5, v82
	v_mul_f32_e32 v78, 0x3f2c7751, v141
	v_sub_f32_e32 v145, v11, v5
	v_add_f32_e32 v144, v13, v27
	v_add_f32_e32 v74, v4, v10
	;; [unrolled: 1-line block ×3, first 2 shown]
	v_fmamk_f32 v42, v73, 0x3f3d2fb0, v78
	v_mul_f32_e32 v79, 0xbf4c4adb, v145
	v_sub_f32_e32 v151, v25, v15
	v_mul_f32_e32 v92, 0xbe8c1d8e, v144
	v_sub_f32_e32 v70, v26, v12
	v_sub_f32_e32 v156, v36, v38
	v_add_f32_e32 v41, v42, v41
	v_fmamk_f32 v42, v74, 0xbf1a4643, v79
	v_add_f32_e32 v75, v14, v24
	v_mul_f32_e32 v80, 0x3f65296c, v151
	v_sub_f32_e32 v150, v27, v13
	v_fmamk_f32 v43, v70, 0x3f763a35, v92
	v_add_f32_e32 v72, v37, v39
	v_mul_f32_e32 v96, 0x3f7ee86f, v156
	v_add_f32_e32 v41, v42, v41
	v_fmamk_f32 v42, v75, 0x3ee437d1, v80
	v_add_f32_e32 v76, v12, v26
	v_mul_f32_e32 v81, 0xbf763a35, v150
	v_mul_f32_e32 v108, 0xbf59a7d5, v133
	v_add_f32_e32 v40, v43, v40
	v_fma_f32 v43, 0x3dbcf732, v72, -v96
	v_add_f32_e32 v42, v42, v41
	v_fmamk_f32 v44, v76, 0xbe8c1d8e, v81
	v_fmamk_f32 v45, v67, 0x3f06c442, v108
	v_mul_f32_e32 v93, 0x3ee437d1, v131
	v_add_f32_e32 v41, v43, v40
	v_mul_f32_e32 v94, 0x3dbcf732, v113
	v_add_f32_e32 v40, v44, v42
	v_add_f32_e32 v42, v29, v45
	v_fmamk_f32 v43, v53, 0xbf65296c, v93
	v_mul_f32_e32 v117, 0xbf06c442, v137
	v_mul_f32_e32 v106, 0xbf1a4643, v105
	;; [unrolled: 1-line block ×3, first 2 shown]
	v_sub_f32_e32 v164, v37, v39
	v_add_f32_e32 v42, v43, v42
	v_fmamk_f32 v43, v54, 0x3f7ee86f, v94
	v_fmamk_f32 v45, v68, 0xbf59a7d5, v117
	v_mul_f32_e32 v107, 0x3f6eb680, v99
	v_fmamk_f32 v46, v69, 0x3ee437d1, v118
	v_mul_f32_e32 v119, 0xbf7ee86f, v140
	v_add_f32_e32 v42, v43, v42
	v_fmamk_f32 v43, v52, 0xbf4c4adb, v106
	v_add_f32_e32 v45, v28, v45
	v_add_f32_e32 v77, v36, v38
	v_mul_f32_e32 v90, 0x3f7ee86f, v164
	v_mul_f32_e32 v109, 0xbf7ba420, v100
	v_add_f32_e32 v42, v43, v42
	v_fmamk_f32 v43, v55, 0x3eb8f4ab, v107
	v_add_f32_e32 v45, v46, v45
	v_fmamk_f32 v46, v71, 0x3dbcf732, v119
	v_mul_f32_e32 v124, 0x3f4c4adb, v141
	v_fmamk_f32 v44, v77, 0x3dbcf732, v90
	v_add_f32_e32 v42, v43, v42
	v_fmamk_f32 v43, v66, 0x3e3c28d5, v109
	v_mul_f32_e32 v98, 0x3f3d2fb0, v144
	v_add_f32_e32 v45, v46, v45
	v_fmamk_f32 v46, v73, 0xbf1a4643, v124
	v_mul_f32_e32 v126, 0xbeb8f4ab, v145
	v_add_f32_e32 v42, v43, v42
	v_fmamk_f32 v43, v70, 0xbf2c7751, v98
	v_add_f32_e32 v40, v44, v40
	v_add_f32_e32 v44, v46, v45
	v_fmamk_f32 v45, v74, 0x3f6eb680, v126
	v_mul_f32_e32 v127, 0xbe3c28d5, v151
	v_mul_f32_e32 v110, 0xbf763a35, v156
	;; [unrolled: 1-line block ×3, first 2 shown]
	v_add_f32_e32 v42, v43, v42
	v_add_f32_e32 v43, v45, v44
	v_fmamk_f32 v44, v75, 0xbf7ba420, v127
	v_mul_f32_e32 v128, 0x3f2c7751, v150
	v_fma_f32 v45, 0xbe8c1d8e, v72, -v110
	v_fmamk_f32 v46, v67, 0x3f4c4adb, v125
	v_mul_f32_e32 v97, 0xbe8c1d8e, v131
	v_add_f32_e32 v44, v44, v43
	v_fmamk_f32 v47, v76, 0x3f3d2fb0, v128
	v_add_f32_e32 v43, v45, v42
	v_add_f32_e32 v42, v29, v46
	v_fmamk_f32 v45, v53, 0xbf763a35, v97
	v_mul_f32_e32 v95, 0x3f6eb680, v113
	v_mul_f32_e32 v134, 0xbf4c4adb, v137
	v_add_f32_e32 v44, v47, v44
	v_mul_f32_e32 v101, 0xbf59a7d5, v105
	v_add_f32_e32 v42, v45, v42
	v_fmamk_f32 v45, v54, 0x3eb8f4ab, v95
	v_fmamk_f32 v47, v68, 0xbf1a4643, v134
	v_mul_f32_e32 v136, 0x3f763a35, v139
	v_mul_f32_e32 v102, 0x3dbcf732, v99
	;; [unrolled: 1-line block ×3, first 2 shown]
	v_add_f32_e32 v42, v45, v42
	v_fmamk_f32 v45, v52, 0x3f06c442, v101
	v_add_f32_e32 v47, v28, v47
	v_fmamk_f32 v48, v69, 0xbe8c1d8e, v136
	v_mul_f32_e32 v112, 0xbf763a35, v164
	v_mul_f32_e32 v103, 0x3f3d2fb0, v100
	v_add_f32_e32 v42, v45, v42
	v_fmamk_f32 v45, v55, 0xbf7ee86f, v102
	v_add_f32_e32 v47, v48, v47
	v_fmamk_f32 v48, v71, 0x3f6eb680, v120
	v_mul_f32_e32 v121, 0xbf06c442, v141
	v_fmamk_f32 v46, v77, 0xbe8c1d8e, v112
	v_add_f32_e32 v42, v45, v42
	v_fmamk_f32 v45, v66, 0x3f2c7751, v103
	v_mul_f32_e32 v104, 0xbf7ba420, v144
	v_add_f32_e32 v47, v48, v47
	v_fmamk_f32 v48, v73, 0xbf59a7d5, v121
	v_mul_f32_e32 v122, 0x3f7ee86f, v145
	v_add_f32_e32 v45, v45, v42
	v_fmamk_f32 v49, v70, 0x3e3c28d5, v104
	v_add_f32_e32 v42, v46, v44
	v_add_f32_e32 v44, v48, v47
	v_fmamk_f32 v46, v74, 0x3dbcf732, v122
	v_mul_f32_e32 v123, 0xbf2c7751, v151
	v_mul_f32_e32 v111, 0x3f65296c, v156
	;; [unrolled: 1-line block ×3, first 2 shown]
	v_add_f32_e32 v45, v49, v45
	v_add_f32_e32 v44, v46, v44
	v_fmamk_f32 v46, v75, 0x3f3d2fb0, v123
	v_mul_f32_e32 v132, 0xbe3c28d5, v150
	v_fma_f32 v47, 0x3ee437d1, v72, -v111
	v_fmamk_f32 v48, v67, 0x3f763a35, v152
	v_mul_f32_e32 v153, 0xbf59a7d5, v131
	v_add_f32_e32 v44, v46, v44
	v_fmamk_f32 v46, v76, 0xbf7ba420, v132
	v_add_f32_e32 v45, v47, v45
	v_add_f32_e32 v47, v29, v48
	v_fmamk_f32 v48, v53, 0xbf06c442, v153
	v_mul_f32_e32 v154, 0x3f3d2fb0, v113
	v_mul_f32_e32 v142, 0xbf763a35, v137
	v_add_f32_e32 v44, v46, v44
	v_mul_f32_e32 v168, 0x3ee437d1, v105
	v_add_f32_e32 v46, v48, v47
	v_fmamk_f32 v47, v54, 0xbf2c7751, v154
	v_fmamk_f32 v49, v68, 0xbe8c1d8e, v142
	v_mul_f32_e32 v146, 0x3f06c442, v139
	v_mul_f32_e32 v169, 0xbf7ba420, v99
	;; [unrolled: 1-line block ×3, first 2 shown]
	v_add_f32_e32 v46, v47, v46
	v_fmamk_f32 v47, v52, 0x3f65296c, v168
	v_add_f32_e32 v49, v28, v49
	v_fmamk_f32 v114, v69, 0xbf59a7d5, v146
	v_mul_f32_e32 v130, 0x3f65296c, v164
	v_mul_f32_e32 v157, 0x3dbcf732, v100
	v_add_f32_e32 v46, v47, v46
	v_fmamk_f32 v47, v55, 0x3e3c28d5, v169
	v_add_f32_e32 v49, v114, v49
	v_fmamk_f32 v115, v71, 0x3f3d2fb0, v138
	v_mul_f32_e32 v114, 0xbf65296c, v141
	v_fmamk_f32 v48, v77, 0x3ee437d1, v130
	v_add_f32_e32 v46, v47, v46
	v_fmamk_f32 v47, v66, 0xbf7ee86f, v157
	v_mul_f32_e32 v147, 0x3f6eb680, v144
	v_add_f32_e32 v49, v115, v49
	v_fmamk_f32 v116, v73, 0x3ee437d1, v114
	v_mul_f32_e32 v115, 0xbe3c28d5, v145
	v_add_f32_e32 v46, v47, v46
	v_fmamk_f32 v47, v70, 0x3eb8f4ab, v147
	v_add_f32_e32 v44, v48, v44
	v_add_f32_e32 v48, v116, v49
	v_fmamk_f32 v49, v74, 0xbf7ba420, v115
	v_mul_f32_e32 v116, 0x3f7ee86f, v151
	v_mul_f32_e32 v155, 0xbf4c4adb, v156
	;; [unrolled: 1-line block ×3, first 2 shown]
	v_add_f32_e32 v46, v47, v46
	v_add_f32_e32 v47, v49, v48
	v_fmamk_f32 v48, v75, 0x3dbcf732, v116
	v_fma_f32 v49, 0xbf1a4643, v72, -v155
	v_fmamk_f32 v135, v67, 0x3f7ee86f, v165
	v_mul_f32_e32 v143, 0xbf7ba420, v131
	v_mul_f32_e32 v148, 0xbe8c1d8e, v113
	v_add_f32_e32 v48, v48, v47
	v_add_f32_e32 v47, v49, v46
	;; [unrolled: 1-line block ×3, first 2 shown]
	v_fmamk_f32 v49, v53, 0x3e3c28d5, v143
	v_mul_f32_e32 v173, 0xbf7ee86f, v137
	v_mul_f32_e32 v163, 0x3f6eb680, v105
	;; [unrolled: 1-line block ×4, first 2 shown]
	v_add_f32_e32 v46, v49, v46
	v_fmamk_f32 v49, v54, 0xbf763a35, v148
	v_fmamk_f32 v158, v68, 0x3dbcf732, v173
	v_mul_f32_e32 v166, 0x3ee437d1, v99
	v_fmamk_f32 v159, v69, 0xbf7ba420, v174
	v_mul_f32_e32 v175, 0x3f763a35, v140
	v_add_f32_e32 v46, v49, v46
	v_fmamk_f32 v49, v52, 0xbeb8f4ab, v163
	v_add_f32_e32 v158, v28, v158
	v_fmamk_f32 v149, v76, 0x3f6eb680, v129
	v_mul_f32_e32 v135, 0xbf4c4adb, v164
	v_mul_f32_e32 v167, 0xbf59a7d5, v100
	v_add_f32_e32 v46, v49, v46
	v_fmamk_f32 v49, v55, 0x3f65296c, v166
	v_add_f32_e32 v158, v159, v158
	v_fmamk_f32 v160, v71, 0xbe8c1d8e, v175
	v_mul_f32_e32 v179, 0x3eb8f4ab, v141
	v_add_f32_e32 v48, v149, v48
	v_fmamk_f32 v149, v77, 0xbf1a4643, v135
	v_add_f32_e32 v46, v49, v46
	v_fmamk_f32 v49, v66, 0x3f06c442, v167
	v_mul_f32_e32 v159, 0xbf1a4643, v144
	v_add_f32_e32 v158, v160, v158
	v_fmamk_f32 v160, v73, 0x3f6eb680, v179
	v_mul_f32_e32 v181, 0xbf65296c, v145
	v_add_f32_e32 v49, v49, v46
	v_fmamk_f32 v161, v70, 0xbf4c4adb, v159
	v_add_f32_e32 v46, v149, v48
	v_add_f32_e32 v48, v160, v158
	v_fmamk_f32 v149, v74, 0x3ee437d1, v181
	v_mul_f32_e32 v182, 0xbf06c442, v151
	v_mul_f32_e32 v170, 0x3f2c7751, v156
	;; [unrolled: 1-line block ×3, first 2 shown]
	v_add_f32_e32 v49, v161, v49
	v_add_f32_e32 v48, v149, v48
	v_fmamk_f32 v149, v75, 0xbf59a7d5, v182
	v_mul_f32_e32 v183, 0x3f4c4adb, v150
	v_fma_f32 v160, 0x3f3d2fb0, v72, -v170
	v_fmamk_f32 v161, v67, 0x3f65296c, v180
	v_mul_f32_e32 v158, 0xbf1a4643, v131
	v_add_f32_e32 v48, v149, v48
	v_fmamk_f32 v162, v76, 0xbf1a4643, v183
	v_add_f32_e32 v49, v160, v49
	v_add_f32_e32 v160, v29, v161
	v_fmamk_f32 v161, v53, 0x3f4c4adb, v158
	v_mul_f32_e32 v149, 0xbf7ba420, v113
	v_add_f32_e32 v48, v162, v48
	v_mul_f32_e32 v185, 0xbf65296c, v137
	v_mul_f32_e32 v186, 0xbf4c4adb, v139
	v_add_f32_e32 v161, v161, v160
	v_fmamk_f32 v162, v54, 0xbe3c28d5, v149
	v_mul_f32_e32 v160, 0xbe8c1d8e, v105
	v_fmamk_f32 v176, v68, 0x3ee437d1, v185
	v_fmamk_f32 v184, v69, 0xbf1a4643, v186
	v_mul_f32_e32 v172, 0x3f2c7751, v164
	v_add_f32_e32 v162, v162, v161
	v_fmamk_f32 v177, v52, 0xbf763a35, v160
	v_mul_f32_e32 v161, 0x3f3d2fb0, v99
	v_add_f32_e32 v178, v28, v176
	v_mul_f32_e32 v176, 0x3e3c28d5, v140
	v_add_f32_e32 v31, v31, v29
	v_add_f32_e32 v187, v177, v162
	v_fmamk_f32 v188, v55, 0xbf2c7751, v161
	v_mul_f32_e32 v162, 0x3f6eb680, v100
	v_add_f32_e32 v178, v184, v178
	v_fmamk_f32 v184, v71, 0xbf7ba420, v176
	v_mul_f32_e32 v177, 0x3f763a35, v141
	v_add_f32_e32 v187, v188, v187
	v_fmamk_f32 v188, v66, 0x3eb8f4ab, v162
	v_add_f32_e32 v30, v30, v28
	v_add_f32_e32 v184, v184, v178
	v_fmamk_f32 v189, v73, 0xbe8c1d8e, v177
	v_mul_f32_e32 v178, 0x3f2c7751, v145
	v_add_f32_e32 v190, v188, v187
	v_mul_f32_e32 v187, 0x3f3d2fb0, v133
	v_fmamk_f32 v171, v77, 0x3f3d2fb0, v172
	v_add_f32_e32 v189, v189, v184
	v_fmamk_f32 v191, v74, 0x3f3d2fb0, v178
	v_mul_f32_e32 v184, 0xbeb8f4ab, v151
	v_fmamk_f32 v193, v67, 0x3f2c7751, v187
	v_mul_f32_e32 v188, 0x3dbcf732, v131
	v_add_f32_e32 v31, v33, v31
	v_add_f32_e32 v30, v32, v30
	;; [unrolled: 1-line block ×3, first 2 shown]
	v_mul_f32_e32 v171, 0x3dbcf732, v144
	v_add_f32_e32 v189, v191, v189
	v_fmamk_f32 v32, v75, 0x3f6eb680, v184
	v_add_f32_e32 v33, v29, v193
	v_fmamk_f32 v191, v53, 0x3f7ee86f, v188
	v_add_f32_e32 v35, v35, v31
	v_add_f32_e32 v193, v34, v30
	v_mul_f32_e32 v34, 0xbf1a4643, v113
	v_fmamk_f32 v192, v70, 0x3f7ee86f, v171
	v_add_f32_e32 v32, v32, v189
	v_add_f32_e32 v189, v191, v33
	v_mul_f32_e32 v33, 0xbf7ba420, v105
	v_fmamk_f32 v191, v54, 0x3f4c4adb, v34
	v_add_f32_e32 v9, v9, v35
	v_add_f32_e32 v8, v8, v193
	v_add_f32_e32 v192, v192, v190
	v_mul_f32_e32 v190, 0xbf59a7d5, v99
	v_add_f32_e32 v189, v191, v189
	v_fmamk_f32 v191, v52, 0x3e3c28d5, v33
	v_add_f32_e32 v9, v11, v9
	v_add_f32_e32 v8, v10, v8
	v_fmamk_f32 v10, v55, 0xbf06c442, v190
	v_mul_f32_e32 v35, 0xbe8c1d8e, v100
	v_add_f32_e32 v191, v191, v189
	v_mul_f32_e32 v189, 0xbf2c7751, v137
	v_add_f32_e32 v9, v25, v9
	v_add_f32_e32 v8, v24, v8
	v_mul_f32_e32 v31, 0xbf7ee86f, v150
	v_add_f32_e32 v10, v10, v191
	v_fmamk_f32 v24, v68, 0x3f3d2fb0, v189
	v_add_f32_e32 v9, v27, v9
	v_add_f32_e32 v8, v26, v8
	v_fmamk_f32 v27, v66, 0xbf763a35, v35
	v_mul_f32_e32 v26, 0xbf7ee86f, v139
	v_fmamk_f32 v194, v76, 0x3dbcf732, v31
	v_mul_f32_e32 v25, 0x3ee437d1, v144
	v_add_f32_e32 v191, v28, v24
	v_add_f32_e32 v8, v36, v8
	v_fmamk_f32 v36, v69, 0x3dbcf732, v26
	v_add_f32_e32 v10, v27, v10
	v_mul_f32_e32 v27, 0xbf4c4adb, v140
	v_add_f32_e32 v194, v194, v32
	v_mul_f32_e32 v32, 0xbf06c442, v164
	v_add_f32_e32 v9, v37, v9
	v_add_f32_e32 v196, v38, v8
	v_fmamk_f32 v8, v70, 0xbf65296c, v25
	v_mul_f32_e32 v24, 0x3eb8f4ab, v156
	v_add_f32_e32 v37, v36, v191
	v_fmamk_f32 v38, v71, 0xbf1a4643, v27
	v_mul_f32_e32 v36, 0xbe3c28d5, v141
	v_fmamk_f32 v11, v77, 0xbf59a7d5, v32
	v_add_f32_e32 v193, v39, v9
	v_add_f32_e32 v10, v8, v10
	v_fma_f32 v191, 0x3f6eb680, v72, -v24
	v_add_f32_e32 v38, v38, v37
	v_mul_f32_e32 v39, 0x3f6eb680, v133
	v_fmamk_f32 v133, v73, 0xbf7ba420, v36
	v_mul_f32_e32 v37, 0x3f06c442, v145
	v_mul_f32_e32 v30, 0xbf06c442, v156
	v_add_f32_e32 v8, v11, v194
	v_add_f32_e32 v11, v191, v10
	v_fmamk_f32 v10, v67, 0x3eb8f4ab, v39
	v_add_f32_e32 v133, v133, v38
	v_fmamk_f32 v191, v74, 0xbf59a7d5, v37
	v_mul_f32_e32 v131, 0x3f3d2fb0, v131
	v_fma_f32 v195, 0xbf59a7d5, v72, -v30
	v_add_f32_e32 v10, v29, v10
	v_add_f32_e32 v13, v13, v193
	;; [unrolled: 1-line block ×3, first 2 shown]
	v_fmamk_f32 v191, v53, 0x3f2c7751, v131
	v_mul_f32_e32 v113, 0x3ee437d1, v113
	v_add_f32_e32 v9, v195, v192
	v_mul_f32_e32 v38, 0x3f763a35, v151
	v_add_f32_e32 v12, v12, v196
	v_add_f32_e32 v192, v15, v13
	;; [unrolled: 1-line block ×3, first 2 shown]
	v_fmamk_f32 v15, v54, 0x3f65296c, v113
	v_mul_f32_e32 v105, 0x3dbcf732, v105
	v_mul_f32_e32 v137, 0xbeb8f4ab, v137
	v_add_f32_e32 v14, v14, v12
	v_fmamk_f32 v12, v75, 0xbe8c1d8e, v38
	v_mul_f32_e32 v13, 0x3f65296c, v150
	v_add_f32_e32 v10, v15, v10
	v_fmamk_f32 v15, v52, 0x3f7ee86f, v105
	v_mul_f32_e32 v99, 0xbe8c1d8e, v99
	v_fmamk_f32 v193, v68, 0x3f6eb680, v137
	v_mul_f32_e32 v139, 0xbf2c7751, v139
	v_add_f32_e32 v133, v12, v133
	v_fmamk_f32 v191, v76, 0x3ee437d1, v13
	v_mul_f32_e32 v12, 0x3eb8f4ab, v164
	v_add_f32_e32 v10, v15, v10
	;; [unrolled: 3-line block ×3, first 2 shown]
	v_fmamk_f32 v194, v69, 0x3f3d2fb0, v139
	v_mul_f32_e32 v140, 0xbf65296c, v140
	v_fmac_f32_e32 v83, 0xbe3c28d5, v67
	v_add_f32_e32 v133, v191, v133
	v_fmamk_f32 v191, v77, 0x3f6eb680, v12
	v_add_f32_e32 v15, v15, v10
	v_fmamk_f32 v195, v66, 0x3f4c4adb, v100
	v_mul_f32_e32 v144, 0xbf59a7d5, v144
	v_add_f32_e32 v193, v194, v193
	v_fmamk_f32 v194, v71, 0x3ee437d1, v140
	v_mul_f32_e32 v141, 0xbf7ee86f, v141
	v_add_f32_e32 v83, v29, v83
	v_fmac_f32_e32 v84, 0x3eb8f4ab, v53
	v_add_f32_e32 v10, v191, v133
	v_add_f32_e32 v15, v195, v15
	v_fmamk_f32 v133, v70, 0x3f06c442, v144
	v_add_f32_e32 v191, v194, v193
	v_fmamk_f32 v193, v73, 0x3dbcf732, v141
	v_mul_f32_e32 v145, 0xbf763a35, v145
	v_add_f32_e32 v5, v5, v192
	v_add_f32_e32 v83, v84, v83
	v_fmac_f32_e32 v85, 0xbf06c442, v54
	v_add_f32_e32 v15, v133, v15
	v_add_f32_e32 v133, v193, v191
	v_fmamk_f32 v191, v74, 0xbe8c1d8e, v145
	v_mul_f32_e32 v151, 0xbf4c4adb, v151
	v_add_f32_e32 v5, v7, v5
	v_add_f32_e32 v4, v4, v14
	;; [unrolled: 1-line block ×3, first 2 shown]
	v_fmac_f32_e32 v86, 0x3f2c7751, v52
	v_add_f32_e32 v133, v191, v133
	v_fmamk_f32 v191, v75, 0xbf1a4643, v151
	v_add_f32_e32 v1, v1, v5
	v_add_f32_e32 v4, v6, v4
	;; [unrolled: 1-line block ×3, first 2 shown]
	v_fmac_f32_e32 v91, 0xbf4c4adb, v55
	v_add_f32_e32 v84, v191, v133
	v_mul_f32_e32 v133, 0xbf06c442, v150
	v_add_f32_e32 v1, v3, v1
	v_add_f32_e32 v0, v0, v4
	;; [unrolled: 1-line block ×3, first 2 shown]
	v_fmac_f32_e32 v89, 0x3f65296c, v66
	v_fmamk_f32 v14, v76, 0xbf59a7d5, v133
	v_mul_f32_e32 v83, 0xbe3c28d5, v164
	v_fma_f32 v4, 0xbf7ba420, v68, -v87
	v_add_f32_e32 v0, v2, v0
	v_add_f32_e32 v2, v89, v3
	v_fmac_f32_e32 v92, 0xbf763a35, v70
	v_add_f32_e32 v6, v14, v84
	v_fmamk_f32 v7, v77, 0xbf7ba420, v83
	v_add_f32_e32 v3, v28, v4
	v_fma_f32 v4, 0x3f6eb680, v69, -v88
	v_fmac_f32_e32 v108, 0xbf06c442, v67
	v_add_f32_e32 v2, v92, v2
	v_fmac_f32_e32 v96, 0x3dbcf732, v72
	v_add_f32_e32 v14, v7, v6
	v_add_f32_e32 v4, v4, v3
	v_fma_f32 v5, 0xbf59a7d5, v71, -v82
	v_add_f32_e32 v6, v29, v108
	v_fmac_f32_e32 v93, 0x3f65296c, v53
	v_add_f32_e32 v3, v96, v2
	v_fma_f32 v2, 0xbf59a7d5, v68, -v117
	v_add_f32_e32 v4, v5, v4
	v_fma_f32 v5, 0x3f3d2fb0, v73, -v78
	v_add_f32_e32 v6, v93, v6
	v_fmac_f32_e32 v94, 0xbf7ee86f, v54
	v_add_f32_e32 v2, v28, v2
	v_fma_f32 v7, 0x3ee437d1, v69, -v118
	;; [unrolled: 6-line block ×5, first 2 shown]
	v_add_f32_e32 v0, v57, v0
	v_add_f32_e32 v4, v5, v4
	v_fma_f32 v5, 0x3dbcf732, v77, -v90
	v_add_f32_e32 v6, v109, v6
	v_fmac_f32_e32 v98, 0x3f2c7751, v70
	v_add_f32_e32 v7, v7, v2
	v_fma_f32 v57, 0xbf7ba420, v75, -v127
	v_fmac_f32_e32 v125, 0xbf4c4adb, v67
	v_add_f32_e32 v2, v5, v4
	v_add_f32_e32 v4, v98, v6
	v_fmac_f32_e32 v110, 0xbe8c1d8e, v72
	v_add_f32_e32 v6, v57, v7
	v_fma_f32 v7, 0x3f3d2fb0, v76, -v128
	v_add_f32_e32 v57, v29, v125
	v_fmac_f32_e32 v97, 0x3f763a35, v53
	v_add_f32_e32 v5, v110, v4
	v_fma_f32 v4, 0xbf1a4643, v68, -v134
	v_add_f32_e32 v6, v7, v6
	v_fma_f32 v7, 0xbe8c1d8e, v77, -v112
	v_add_f32_e32 v57, v97, v57
	v_fmac_f32_e32 v95, 0xbeb8f4ab, v54
	v_add_f32_e32 v1, v58, v1
	v_add_f32_e32 v58, v28, v4
	v_fma_f32 v78, 0xbe8c1d8e, v69, -v136
	v_add_f32_e32 v4, v7, v6
	v_fmac_f32_e32 v152, 0xbf763a35, v67
	v_add_f32_e32 v6, v95, v57
	v_fmac_f32_e32 v101, 0xbf06c442, v52
	v_add_f32_e32 v7, v78, v58
	v_fma_f32 v57, 0x3f6eb680, v71, -v120
	v_add_f32_e32 v58, v29, v152
	v_fmac_f32_e32 v153, 0x3f06c442, v53
	v_add_f32_e32 v6, v101, v6
	v_fmac_f32_e32 v102, 0x3f7ee86f, v55
	;; [unrolled: 6-line block ×5, first 2 shown]
	v_add_f32_e32 v57, v57, v7
	v_fma_f32 v78, 0xbf7ba420, v76, -v132
	v_add_f32_e32 v58, v169, v58
	v_fmac_f32_e32 v157, 0x3f7ee86f, v66
	v_add_f32_e32 v7, v111, v6
	v_fma_f32 v6, 0xbe8c1d8e, v68, -v142
	v_add_f32_e32 v57, v78, v57
	v_fma_f32 v78, 0x3ee437d1, v77, -v130
	v_add_f32_e32 v58, v157, v58
	v_fmac_f32_e32 v147, 0xbeb8f4ab, v70
	v_add_f32_e32 v79, v28, v6
	v_fma_f32 v80, 0xbf59a7d5, v69, -v146
	v_fmac_f32_e32 v165, 0xbf7ee86f, v67
	v_add_f32_e32 v6, v78, v57
	v_add_f32_e32 v57, v147, v58
	v_fmac_f32_e32 v155, 0xbf1a4643, v72
	v_add_f32_e32 v78, v80, v79
	v_fma_f32 v79, 0x3f3d2fb0, v71, -v138
	v_add_f32_e32 v80, v29, v165
	v_fmac_f32_e32 v143, 0xbe3c28d5, v53
	v_add_f32_e32 v58, v155, v57
	v_fma_f32 v57, 0x3dbcf732, v68, -v173
	v_add_f32_e32 v78, v79, v78
	v_fma_f32 v79, 0x3ee437d1, v73, -v114
	v_add_f32_e32 v80, v143, v80
	v_fmac_f32_e32 v148, 0x3f763a35, v54
	v_add_f32_e32 v57, v28, v57
	v_fma_f32 v81, 0xbf7ba420, v69, -v174
	;; [unrolled: 6-line block ×6, first 2 shown]
	v_add_f32_e32 v57, v79, v78
	v_fmac_f32_e32 v180, 0xbf65296c, v67
	v_add_f32_e32 v78, v159, v80
	v_fmac_f32_e32 v170, 0x3f3d2fb0, v72
	v_add_f32_e32 v80, v82, v81
	v_fma_f32 v81, 0xbf1a4643, v76, -v183
	v_add_f32_e32 v82, v29, v180
	v_fmac_f32_e32 v158, 0xbf4c4adb, v53
	v_add_f32_e32 v79, v170, v78
	v_fma_f32 v78, 0x3ee437d1, v68, -v185
	v_add_f32_e32 v80, v81, v80
	v_fma_f32 v81, 0x3f3d2fb0, v77, -v172
	v_add_f32_e32 v82, v158, v82
	v_fmac_f32_e32 v149, 0x3e3c28d5, v54
	v_add_f32_e32 v84, v28, v78
	v_fma_f32 v85, 0xbf1a4643, v69, -v186
	v_add_f32_e32 v78, v81, v80
	v_fmac_f32_e32 v187, 0xbf2c7751, v67
	v_add_f32_e32 v80, v149, v82
	v_fmac_f32_e32 v160, 0x3f763a35, v52
	v_add_f32_e32 v81, v85, v84
	v_fma_f32 v82, 0xbf7ba420, v71, -v176
	v_add_f32_e32 v84, v29, v187
	v_fmac_f32_e32 v188, 0xbf7ee86f, v53
	;; [unrolled: 6-line block ×6, first 2 shown]
	v_add_f32_e32 v31, v30, v34
	v_fma_f32 v30, 0x3f3d2fb0, v68, -v189
	v_add_f32_e32 v34, v81, v80
	v_fma_f32 v32, 0xbf59a7d5, v77, -v32
	;; [unrolled: 2-line block ×3, first 2 shown]
	v_add_f32_e32 v35, v28, v30
	v_fmac_f32_e32 v39, 0xbeb8f4ab, v67
	v_add_f32_e32 v30, v32, v34
	v_fma_f32 v32, 0x3f6eb680, v68, -v137
	v_fma_f32 v27, 0xbf1a4643, v71, -v27
	v_add_f32_e32 v26, v26, v35
	v_add_f32_e32 v29, v29, v39
	v_fmac_f32_e32 v131, 0xbf2c7751, v53
	v_add_f32_e32 v28, v28, v32
	v_fma_f32 v32, 0x3f3d2fb0, v69, -v139
	v_add_f32_e32 v26, v27, v26
	v_fma_f32 v27, 0xbf7ba420, v73, -v36
	v_add_f32_e32 v29, v131, v29
	v_fmac_f32_e32 v113, 0xbf65296c, v54
	v_add_f32_e32 v28, v32, v28
	v_fma_f32 v32, 0x3ee437d1, v71, -v140
	v_add_f32_e32 v26, v27, v26
	v_fma_f32 v27, 0xbf59a7d5, v74, -v37
	;; [unrolled: 6-line block ×3, first 2 shown]
	v_add_f32_e32 v29, v105, v29
	v_fmac_f32_e32 v99, 0xbf763a35, v55
	v_add_f32_e32 v28, v32, v28
	v_fma_f32 v32, 0xbe8c1d8e, v74, -v145
	v_mul_f32_e32 v156, 0xbe3c28d5, v156
	v_add_f32_e32 v26, v27, v26
	v_fma_f32 v13, 0x3ee437d1, v76, -v13
	v_add_f32_e32 v27, v99, v29
	v_fmac_f32_e32 v100, 0xbf4c4adb, v66
	v_add_f32_e32 v28, v32, v28
	v_fma_f32 v29, 0xbf1a4643, v75, -v151
	v_fma_f32 v193, 0xbf7ba420, v72, -v156
	v_fmac_f32_e32 v25, 0x3f65296c, v70
	v_add_f32_e32 v26, v13, v26
	v_add_f32_e32 v13, v100, v27
	v_fmac_f32_e32 v144, 0xbf06c442, v70
	v_add_f32_e32 v27, v29, v28
	v_fma_f32 v28, 0xbf59a7d5, v76, -v133
	v_and_b32_e32 v29, 0xffff, v65
	v_add_f32_e32 v15, v193, v15
	v_add_f32_e32 v25, v25, v33
	v_fmac_f32_e32 v24, 0x3f6eb680, v72
	v_fma_f32 v12, 0x3f6eb680, v77, -v12
	v_add_f32_e32 v32, v144, v13
	v_fmac_f32_e32 v156, 0xbf7ba420, v72
	v_add_f32_e32 v27, v28, v27
	v_fma_f32 v28, 0xbf7ba420, v77, -v83
	v_lshl_add_u32 v29, v29, 3, v64
	v_add_f32_e32 v13, v24, v25
	v_add_f32_e32 v12, v12, v26
	;; [unrolled: 1-line block ×4, first 2 shown]
	ds_write2_b64 v29, v[0:1], v[14:15] offset1:1
	ds_write2_b64 v29, v[10:11], v[8:9] offset0:2 offset1:3
	ds_write2_b64 v29, v[48:49], v[46:47] offset0:4 offset1:5
	;; [unrolled: 1-line block ×7, first 2 shown]
	ds_write_b64 v29, v[24:25] offset:128
.LBB0_13:
	s_or_b32 exec_lo, exec_lo, s4
	s_waitcnt lgkmcnt(0)
	s_barrier
	buffer_gl0_inv
	ds_read2_b64 v[0:3], v51 offset1:17
	ds_read2_b64 v[4:7], v51 offset0:34 offset1:51
	ds_read_b64 v[8:9], v51 offset:544
	s_waitcnt lgkmcnt(2)
	v_mul_f32_e32 v10, v21, v3
	s_waitcnt lgkmcnt(1)
	v_mul_f32_e32 v12, v23, v5
	v_mul_f32_e32 v14, v17, v7
	;; [unrolled: 1-line block ×3, first 2 shown]
	s_waitcnt lgkmcnt(0)
	v_mul_f32_e32 v17, v19, v9
	v_mul_f32_e32 v11, v21, v2
	v_fmac_f32_e32 v10, v20, v2
	v_mul_f32_e32 v13, v23, v4
	v_fmac_f32_e32 v12, v22, v4
	v_fmac_f32_e32 v14, v16, v6
	;; [unrolled: 1-line block ×3, first 2 shown]
	v_mul_f32_e32 v19, v19, v8
	v_fma_f32 v11, v20, v3, -v11
	v_add_f32_e32 v3, v0, v10
	v_fma_f32 v13, v22, v5, -v13
	v_fma_f32 v15, v16, v7, -v15
	v_add_f32_e32 v2, v12, v14
	v_add_f32_e32 v8, v10, v17
	v_fma_f32 v9, v18, v9, -v19
	v_add_f32_e32 v21, v3, v12
	v_sub_f32_e32 v7, v13, v15
	v_sub_f32_e32 v4, v10, v12
	;; [unrolled: 1-line block ×3, first 2 shown]
	v_fma_f32 v2, -0.5, v2, v0
	v_fma_f32 v0, -0.5, v8, v0
	v_sub_f32_e32 v5, v11, v9
	v_add_f32_e32 v8, v21, v14
	v_sub_f32_e32 v16, v12, v10
	v_sub_f32_e32 v18, v14, v17
	v_add_f32_e32 v20, v13, v15
	v_add_f32_e32 v22, v4, v6
	v_fmamk_f32 v6, v7, 0x3f737871, v0
	v_fmac_f32_e32 v0, 0xbf737871, v7
	v_add_f32_e32 v19, v1, v11
	v_sub_f32_e32 v10, v10, v17
	v_fmamk_f32 v4, v5, 0xbf737871, v2
	v_fmac_f32_e32 v2, 0x3f737871, v5
	v_add_f32_e32 v8, v8, v17
	v_add_f32_e32 v17, v11, v9
	;; [unrolled: 1-line block ×3, first 2 shown]
	v_fma_f32 v3, -0.5, v20, v1
	v_fmac_f32_e32 v6, 0xbf167918, v5
	v_fmac_f32_e32 v0, 0x3f167918, v5
	;; [unrolled: 1-line block ×4, first 2 shown]
	v_add_f32_e32 v7, v19, v13
	v_sub_f32_e32 v12, v12, v14
	v_fma_f32 v1, -0.5, v17, v1
	v_fmamk_f32 v5, v10, 0x3f737871, v3
	v_fmac_f32_e32 v6, 0x3e9e377a, v16
	v_fmac_f32_e32 v0, 0x3e9e377a, v16
	v_sub_f32_e32 v16, v11, v13
	v_sub_f32_e32 v17, v9, v15
	v_add_f32_e32 v14, v7, v15
	v_fmamk_f32 v7, v12, 0xbf737871, v1
	v_sub_f32_e32 v11, v13, v11
	v_sub_f32_e32 v13, v15, v9
	v_fmac_f32_e32 v1, 0x3f737871, v12
	v_fmac_f32_e32 v3, 0xbf737871, v10
	;; [unrolled: 1-line block ×3, first 2 shown]
	v_add_f32_e32 v15, v16, v17
	v_fmac_f32_e32 v7, 0x3f167918, v10
	v_add_f32_e32 v11, v11, v13
	v_fmac_f32_e32 v1, 0xbf167918, v10
	v_fmac_f32_e32 v3, 0xbf167918, v12
	;; [unrolled: 1-line block ×3, first 2 shown]
	v_add_f32_e32 v9, v14, v9
	v_fmac_f32_e32 v5, 0x3e9e377a, v15
	v_fmac_f32_e32 v7, 0x3e9e377a, v11
	;; [unrolled: 1-line block ×5, first 2 shown]
	ds_write2_b64 v50, v[8:9], v[4:5] offset1:17
	ds_write2_b64 v50, v[6:7], v[0:1] offset0:34 offset1:51
	ds_write_b64 v50, v[2:3] offset:544
	s_waitcnt lgkmcnt(0)
	s_barrier
	buffer_gl0_inv
	s_and_b32 exec_lo, exec_lo, vcc_lo
	s_cbranch_execz .LBB0_15
; %bb.14:
	global_load_dwordx2 v[0:1], v60, s[6:7]
	ds_read_b64 v[2:3], v50
	s_mov_b32 s4, 0x18181818
	s_mov_b32 s5, 0x3f881818
	v_mad_u64_u32 v[6:7], null, s0, v63, 0
	v_lshl_add_u32 v11, v62, 3, v60
	s_mul_hi_u32 s8, s0, 40
	s_waitcnt vmcnt(0) lgkmcnt(0)
	v_mul_f32_e32 v4, v3, v1
	v_mul_f32_e32 v1, v2, v1
	v_fmac_f32_e32 v4, v2, v0
	v_fma_f32 v2, v0, v3, -v1
	v_cvt_f64_f32_e32 v[0:1], v4
	v_cvt_f64_f32_e32 v[2:3], v2
	v_mad_u64_u32 v[4:5], null, s2, v56, 0
	s_mul_i32 s2, s1, 40
	s_add_i32 s2, s8, s2
	v_mad_u64_u32 v[8:9], null, s3, v56, v[5:6]
	s_mul_i32 s3, s0, 40
	v_mad_u64_u32 v[9:10], null, s1, v63, v[7:8]
	v_mov_b32_e32 v5, v8
	v_mul_f64 v[0:1], v[0:1], s[4:5]
	v_mul_f64 v[2:3], v[2:3], s[4:5]
	v_mov_b32_e32 v7, v9
	v_cvt_f32_f64_e32 v0, v[0:1]
	v_cvt_f32_f64_e32 v1, v[2:3]
	v_lshlrev_b64 v[2:3], 3, v[4:5]
	v_lshlrev_b64 v[4:5], 3, v[6:7]
	v_add_co_u32 v9, vcc_lo, s12, v2
	v_add_co_ci_u32_e32 v10, vcc_lo, s13, v3, vcc_lo
	v_add_co_u32 v4, vcc_lo, v9, v4
	v_add_co_ci_u32_e32 v5, vcc_lo, v10, v5, vcc_lo
	global_store_dwordx2 v[4:5], v[0:1], off
	global_load_dwordx2 v[6:7], v60, s[6:7] offset:40
	ds_read2_b64 v[0:3], v11 offset0:5 offset1:10
	v_add_co_u32 v4, vcc_lo, v4, s3
	v_add_co_ci_u32_e32 v5, vcc_lo, s2, v5, vcc_lo
	s_waitcnt vmcnt(0) lgkmcnt(0)
	v_mul_f32_e32 v8, v1, v7
	v_mul_f32_e32 v7, v0, v7
	v_fmac_f32_e32 v8, v0, v6
	v_fma_f32 v6, v6, v1, -v7
	v_cvt_f64_f32_e32 v[0:1], v8
	v_cvt_f64_f32_e32 v[6:7], v6
	v_mul_f64 v[0:1], v[0:1], s[4:5]
	v_mul_f64 v[6:7], v[6:7], s[4:5]
	v_cvt_f32_f64_e32 v0, v[0:1]
	v_cvt_f32_f64_e32 v1, v[6:7]
	global_store_dwordx2 v[4:5], v[0:1], off
	global_load_dwordx2 v[0:1], v60, s[6:7] offset:80
	v_add_co_u32 v4, vcc_lo, v4, s3
	v_add_co_ci_u32_e32 v5, vcc_lo, s2, v5, vcc_lo
	s_waitcnt vmcnt(0)
	v_mul_f32_e32 v6, v3, v1
	v_mul_f32_e32 v1, v2, v1
	v_fmac_f32_e32 v6, v2, v0
	v_fma_f32 v2, v0, v3, -v1
	v_cvt_f64_f32_e32 v[0:1], v6
	v_cvt_f64_f32_e32 v[2:3], v2
	v_mul_f64 v[0:1], v[0:1], s[4:5]
	v_mul_f64 v[2:3], v[2:3], s[4:5]
	v_cvt_f32_f64_e32 v0, v[0:1]
	v_cvt_f32_f64_e32 v1, v[2:3]
	global_store_dwordx2 v[4:5], v[0:1], off
	global_load_dwordx2 v[6:7], v60, s[6:7] offset:120
	ds_read2_b64 v[0:3], v11 offset0:15 offset1:20
	v_add_co_u32 v4, vcc_lo, v4, s3
	v_add_co_ci_u32_e32 v5, vcc_lo, s2, v5, vcc_lo
	s_waitcnt vmcnt(0) lgkmcnt(0)
	v_mul_f32_e32 v8, v1, v7
	v_mul_f32_e32 v7, v0, v7
	v_fmac_f32_e32 v8, v0, v6
	v_fma_f32 v6, v6, v1, -v7
	v_cvt_f64_f32_e32 v[0:1], v8
	v_cvt_f64_f32_e32 v[6:7], v6
	v_mul_f64 v[0:1], v[0:1], s[4:5]
	v_mul_f64 v[6:7], v[6:7], s[4:5]
	v_cvt_f32_f64_e32 v0, v[0:1]
	v_cvt_f32_f64_e32 v1, v[6:7]
	global_store_dwordx2 v[4:5], v[0:1], off
	global_load_dwordx2 v[0:1], v60, s[6:7] offset:160
	v_add_co_u32 v4, vcc_lo, v4, s3
	v_add_co_ci_u32_e32 v5, vcc_lo, s2, v5, vcc_lo
	s_waitcnt vmcnt(0)
	v_mul_f32_e32 v6, v3, v1
	v_mul_f32_e32 v1, v2, v1
	v_fmac_f32_e32 v6, v2, v0
	v_fma_f32 v2, v0, v3, -v1
	v_cvt_f64_f32_e32 v[0:1], v6
	v_cvt_f64_f32_e32 v[2:3], v2
	v_mul_f64 v[0:1], v[0:1], s[4:5]
	v_mul_f64 v[2:3], v[2:3], s[4:5]
	v_cvt_f32_f64_e32 v0, v[0:1]
	v_cvt_f32_f64_e32 v1, v[2:3]
	;; [unrolled: 31-line block ×3, first 2 shown]
	global_store_dwordx2 v[4:5], v[0:1], off
	global_load_dwordx2 v[6:7], v60, s[6:7] offset:280
	ds_read2_b64 v[0:3], v11 offset0:35 offset1:40
	v_add_co_u32 v4, vcc_lo, v4, s3
	v_add_co_ci_u32_e32 v5, vcc_lo, s2, v5, vcc_lo
	s_waitcnt vmcnt(0) lgkmcnt(0)
	v_mul_f32_e32 v8, v1, v7
	v_mul_f32_e32 v7, v0, v7
	v_fmac_f32_e32 v8, v0, v6
	v_fma_f32 v6, v6, v1, -v7
	v_cvt_f64_f32_e32 v[0:1], v8
	v_cvt_f64_f32_e32 v[6:7], v6
	v_mul_f64 v[0:1], v[0:1], s[4:5]
	v_mul_f64 v[6:7], v[6:7], s[4:5]
	v_cvt_f32_f64_e32 v0, v[0:1]
	v_cvt_f32_f64_e32 v1, v[6:7]
	global_store_dwordx2 v[4:5], v[0:1], off
	global_load_dwordx2 v[0:1], v60, s[6:7] offset:320
	v_mad_u64_u32 v[4:5], null, 0x50, s0, v[4:5]
	s_waitcnt vmcnt(0)
	v_mul_f32_e32 v6, v3, v1
	v_mul_f32_e32 v1, v2, v1
	v_fmac_f32_e32 v6, v2, v0
	v_fma_f32 v2, v0, v3, -v1
	v_cvt_f64_f32_e32 v[0:1], v6
	v_cvt_f64_f32_e32 v[2:3], v2
	v_mad_u64_u32 v[6:7], null, s0, v61, 0
	v_mad_u64_u32 v[7:8], null, s1, v61, v[7:8]
	v_mul_f64 v[0:1], v[0:1], s[4:5]
	v_mul_f64 v[2:3], v[2:3], s[4:5]
	v_cvt_f32_f64_e32 v0, v[0:1]
	v_cvt_f32_f64_e32 v1, v[2:3]
	v_lshlrev_b64 v[2:3], 3, v[6:7]
	v_add_co_u32 v2, vcc_lo, v9, v2
	v_add_co_ci_u32_e32 v3, vcc_lo, v10, v3, vcc_lo
	global_store_dwordx2 v[2:3], v[0:1], off
	global_load_dwordx2 v[6:7], v60, s[6:7] offset:360
	ds_read2_b64 v[0:3], v11 offset0:45 offset1:50
	s_waitcnt vmcnt(0) lgkmcnt(0)
	v_mul_f32_e32 v8, v1, v7
	v_mul_f32_e32 v7, v0, v7
	v_fmac_f32_e32 v8, v0, v6
	v_fma_f32 v6, v6, v1, -v7
	v_cvt_f64_f32_e32 v[0:1], v8
	v_cvt_f64_f32_e32 v[6:7], v6
	v_mul_f64 v[0:1], v[0:1], s[4:5]
	v_mul_f64 v[6:7], v[6:7], s[4:5]
	v_cvt_f32_f64_e32 v0, v[0:1]
	v_cvt_f32_f64_e32 v1, v[6:7]
	v_mad_u64_u32 v[5:6], null, 0x50, s1, v[5:6]
	global_store_dwordx2 v[4:5], v[0:1], off
	global_load_dwordx2 v[0:1], v60, s[6:7] offset:400
	v_add_co_u32 v4, vcc_lo, v4, s3
	v_add_co_ci_u32_e32 v5, vcc_lo, s2, v5, vcc_lo
	s_waitcnt vmcnt(0)
	v_mul_f32_e32 v6, v3, v1
	v_mul_f32_e32 v1, v2, v1
	v_fmac_f32_e32 v6, v2, v0
	v_fma_f32 v2, v0, v3, -v1
	v_cvt_f64_f32_e32 v[0:1], v6
	v_cvt_f64_f32_e32 v[2:3], v2
	v_mul_f64 v[0:1], v[0:1], s[4:5]
	v_mul_f64 v[2:3], v[2:3], s[4:5]
	v_cvt_f32_f64_e32 v0, v[0:1]
	v_cvt_f32_f64_e32 v1, v[2:3]
	global_store_dwordx2 v[4:5], v[0:1], off
	global_load_dwordx2 v[6:7], v60, s[6:7] offset:440
	ds_read2_b64 v[0:3], v11 offset0:55 offset1:60
	v_add_co_u32 v4, vcc_lo, v4, s3
	v_add_co_ci_u32_e32 v5, vcc_lo, s2, v5, vcc_lo
	s_waitcnt vmcnt(0) lgkmcnt(0)
	v_mul_f32_e32 v8, v1, v7
	v_mul_f32_e32 v7, v0, v7
	v_fmac_f32_e32 v8, v0, v6
	v_fma_f32 v6, v6, v1, -v7
	v_cvt_f64_f32_e32 v[0:1], v8
	v_cvt_f64_f32_e32 v[6:7], v6
	v_mul_f64 v[0:1], v[0:1], s[4:5]
	v_mul_f64 v[6:7], v[6:7], s[4:5]
	v_cvt_f32_f64_e32 v0, v[0:1]
	v_cvt_f32_f64_e32 v1, v[6:7]
	global_store_dwordx2 v[4:5], v[0:1], off
	global_load_dwordx2 v[0:1], v60, s[6:7] offset:480
	v_add_co_u32 v4, vcc_lo, v4, s3
	v_add_co_ci_u32_e32 v5, vcc_lo, s2, v5, vcc_lo
	s_waitcnt vmcnt(0)
	v_mul_f32_e32 v6, v3, v1
	v_mul_f32_e32 v1, v2, v1
	v_fmac_f32_e32 v6, v2, v0
	v_fma_f32 v2, v0, v3, -v1
	v_cvt_f64_f32_e32 v[0:1], v6
	v_cvt_f64_f32_e32 v[2:3], v2
	v_mul_f64 v[0:1], v[0:1], s[4:5]
	v_mul_f64 v[2:3], v[2:3], s[4:5]
	v_cvt_f32_f64_e32 v0, v[0:1]
	v_cvt_f32_f64_e32 v1, v[2:3]
	global_store_dwordx2 v[4:5], v[0:1], off
	global_load_dwordx2 v[6:7], v60, s[6:7] offset:520
	ds_read2_b64 v[0:3], v11 offset0:65 offset1:70
	v_add_co_u32 v4, vcc_lo, v4, s3
	v_add_co_ci_u32_e32 v5, vcc_lo, s2, v5, vcc_lo
	s_waitcnt vmcnt(0) lgkmcnt(0)
	v_mul_f32_e32 v8, v1, v7
	v_mul_f32_e32 v7, v0, v7
	v_fmac_f32_e32 v8, v0, v6
	v_fma_f32 v6, v6, v1, -v7
	v_cvt_f64_f32_e32 v[0:1], v8
	v_cvt_f64_f32_e32 v[6:7], v6
	v_mul_f64 v[0:1], v[0:1], s[4:5]
	v_mul_f64 v[6:7], v[6:7], s[4:5]
	v_cvt_f32_f64_e32 v0, v[0:1]
	v_cvt_f32_f64_e32 v1, v[6:7]
	global_store_dwordx2 v[4:5], v[0:1], off
	global_load_dwordx2 v[0:1], v60, s[6:7] offset:560
	v_add_co_u32 v4, vcc_lo, v4, s3
	v_add_co_ci_u32_e32 v5, vcc_lo, s2, v5, vcc_lo
	s_waitcnt vmcnt(0)
	v_mul_f32_e32 v6, v3, v1
	v_mul_f32_e32 v1, v2, v1
	v_fmac_f32_e32 v6, v2, v0
	v_fma_f32 v2, v0, v3, -v1
	v_cvt_f64_f32_e32 v[0:1], v6
	v_cvt_f64_f32_e32 v[2:3], v2
	v_mul_f64 v[0:1], v[0:1], s[4:5]
	v_mul_f64 v[2:3], v[2:3], s[4:5]
	v_cvt_f32_f64_e32 v0, v[0:1]
	v_cvt_f32_f64_e32 v1, v[2:3]
	global_store_dwordx2 v[4:5], v[0:1], off
	global_load_dwordx2 v[6:7], v60, s[6:7] offset:600
	ds_read2_b64 v[0:3], v11 offset0:75 offset1:80
	v_add_co_u32 v4, vcc_lo, v4, s3
	v_add_co_ci_u32_e32 v5, vcc_lo, s2, v5, vcc_lo
	s_waitcnt vmcnt(0) lgkmcnt(0)
	v_mul_f32_e32 v8, v1, v7
	v_mul_f32_e32 v7, v0, v7
	v_fmac_f32_e32 v8, v0, v6
	v_fma_f32 v6, v6, v1, -v7
	v_cvt_f64_f32_e32 v[0:1], v8
	v_cvt_f64_f32_e32 v[6:7], v6
	v_mul_f64 v[0:1], v[0:1], s[4:5]
	v_mul_f64 v[6:7], v[6:7], s[4:5]
	v_cvt_f32_f64_e32 v0, v[0:1]
	v_cvt_f32_f64_e32 v1, v[6:7]
	global_store_dwordx2 v[4:5], v[0:1], off
	global_load_dwordx2 v[0:1], v60, s[6:7] offset:640
	s_waitcnt vmcnt(0)
	v_mul_f32_e32 v4, v3, v1
	v_mul_f32_e32 v1, v2, v1
	v_fmac_f32_e32 v4, v2, v0
	v_fma_f32 v2, v0, v3, -v1
	v_cvt_f64_f32_e32 v[0:1], v4
	v_cvt_f64_f32_e32 v[2:3], v2
	v_mad_u64_u32 v[4:5], null, s0, v59, 0
	v_mad_u64_u32 v[5:6], null, s1, v59, v[5:6]
	v_mul_f64 v[0:1], v[0:1], s[4:5]
	v_mul_f64 v[2:3], v[2:3], s[4:5]
	v_cvt_f32_f64_e32 v0, v[0:1]
	v_cvt_f32_f64_e32 v1, v[2:3]
	v_lshlrev_b64 v[2:3], 3, v[4:5]
	v_add_co_u32 v2, vcc_lo, v9, v2
	v_add_co_ci_u32_e32 v3, vcc_lo, v10, v3, vcc_lo
	global_store_dwordx2 v[2:3], v[0:1], off
.LBB0_15:
	s_endpgm
	.section	.rodata,"a",@progbits
	.p2align	6, 0x0
	.amdhsa_kernel bluestein_single_fwd_len85_dim1_sp_op_CI_CI
		.amdhsa_group_segment_fixed_size 10200
		.amdhsa_private_segment_fixed_size 0
		.amdhsa_kernarg_size 104
		.amdhsa_user_sgpr_count 6
		.amdhsa_user_sgpr_private_segment_buffer 1
		.amdhsa_user_sgpr_dispatch_ptr 0
		.amdhsa_user_sgpr_queue_ptr 0
		.amdhsa_user_sgpr_kernarg_segment_ptr 1
		.amdhsa_user_sgpr_dispatch_id 0
		.amdhsa_user_sgpr_flat_scratch_init 0
		.amdhsa_user_sgpr_private_segment_size 0
		.amdhsa_wavefront_size32 1
		.amdhsa_uses_dynamic_stack 0
		.amdhsa_system_sgpr_private_segment_wavefront_offset 0
		.amdhsa_system_sgpr_workgroup_id_x 1
		.amdhsa_system_sgpr_workgroup_id_y 0
		.amdhsa_system_sgpr_workgroup_id_z 0
		.amdhsa_system_sgpr_workgroup_info 0
		.amdhsa_system_vgpr_workitem_id 0
		.amdhsa_next_free_vgpr 197
		.amdhsa_next_free_sgpr 14
		.amdhsa_reserve_vcc 1
		.amdhsa_reserve_flat_scratch 0
		.amdhsa_float_round_mode_32 0
		.amdhsa_float_round_mode_16_64 0
		.amdhsa_float_denorm_mode_32 3
		.amdhsa_float_denorm_mode_16_64 3
		.amdhsa_dx10_clamp 1
		.amdhsa_ieee_mode 1
		.amdhsa_fp16_overflow 0
		.amdhsa_workgroup_processor_mode 1
		.amdhsa_memory_ordered 1
		.amdhsa_forward_progress 0
		.amdhsa_shared_vgpr_count 0
		.amdhsa_exception_fp_ieee_invalid_op 0
		.amdhsa_exception_fp_denorm_src 0
		.amdhsa_exception_fp_ieee_div_zero 0
		.amdhsa_exception_fp_ieee_overflow 0
		.amdhsa_exception_fp_ieee_underflow 0
		.amdhsa_exception_fp_ieee_inexact 0
		.amdhsa_exception_int_div_zero 0
	.end_amdhsa_kernel
	.text
.Lfunc_end0:
	.size	bluestein_single_fwd_len85_dim1_sp_op_CI_CI, .Lfunc_end0-bluestein_single_fwd_len85_dim1_sp_op_CI_CI
                                        ; -- End function
	.section	.AMDGPU.csdata,"",@progbits
; Kernel info:
; codeLenInByte = 14972
; NumSgprs: 16
; NumVgprs: 197
; ScratchSize: 0
; MemoryBound: 0
; FloatMode: 240
; IeeeMode: 1
; LDSByteSize: 10200 bytes/workgroup (compile time only)
; SGPRBlocks: 1
; VGPRBlocks: 24
; NumSGPRsForWavesPerEU: 16
; NumVGPRsForWavesPerEU: 197
; Occupancy: 4
; WaveLimiterHint : 1
; COMPUTE_PGM_RSRC2:SCRATCH_EN: 0
; COMPUTE_PGM_RSRC2:USER_SGPR: 6
; COMPUTE_PGM_RSRC2:TRAP_HANDLER: 0
; COMPUTE_PGM_RSRC2:TGID_X_EN: 1
; COMPUTE_PGM_RSRC2:TGID_Y_EN: 0
; COMPUTE_PGM_RSRC2:TGID_Z_EN: 0
; COMPUTE_PGM_RSRC2:TIDIG_COMP_CNT: 0
	.text
	.p2alignl 6, 3214868480
	.fill 48, 4, 3214868480
	.type	__hip_cuid_acf9380735e17089,@object ; @__hip_cuid_acf9380735e17089
	.section	.bss,"aw",@nobits
	.globl	__hip_cuid_acf9380735e17089
__hip_cuid_acf9380735e17089:
	.byte	0                               ; 0x0
	.size	__hip_cuid_acf9380735e17089, 1

	.ident	"AMD clang version 19.0.0git (https://github.com/RadeonOpenCompute/llvm-project roc-6.4.0 25133 c7fe45cf4b819c5991fe208aaa96edf142730f1d)"
	.section	".note.GNU-stack","",@progbits
	.addrsig
	.addrsig_sym __hip_cuid_acf9380735e17089
	.amdgpu_metadata
---
amdhsa.kernels:
  - .args:
      - .actual_access:  read_only
        .address_space:  global
        .offset:         0
        .size:           8
        .value_kind:     global_buffer
      - .actual_access:  read_only
        .address_space:  global
        .offset:         8
        .size:           8
        .value_kind:     global_buffer
      - .actual_access:  read_only
        .address_space:  global
        .offset:         16
        .size:           8
        .value_kind:     global_buffer
      - .actual_access:  read_only
        .address_space:  global
        .offset:         24
        .size:           8
        .value_kind:     global_buffer
      - .actual_access:  read_only
        .address_space:  global
        .offset:         32
        .size:           8
        .value_kind:     global_buffer
      - .offset:         40
        .size:           8
        .value_kind:     by_value
      - .address_space:  global
        .offset:         48
        .size:           8
        .value_kind:     global_buffer
      - .address_space:  global
        .offset:         56
        .size:           8
        .value_kind:     global_buffer
      - .address_space:  global
        .offset:         64
        .size:           8
        .value_kind:     global_buffer
      - .address_space:  global
        .offset:         72
        .size:           8
        .value_kind:     global_buffer
      - .offset:         80
        .size:           4
        .value_kind:     by_value
      - .address_space:  global
        .offset:         88
        .size:           8
        .value_kind:     global_buffer
      - .address_space:  global
        .offset:         96
        .size:           8
        .value_kind:     global_buffer
    .group_segment_fixed_size: 10200
    .kernarg_segment_align: 8
    .kernarg_segment_size: 104
    .language:       OpenCL C
    .language_version:
      - 2
      - 0
    .max_flat_workgroup_size: 255
    .name:           bluestein_single_fwd_len85_dim1_sp_op_CI_CI
    .private_segment_fixed_size: 0
    .sgpr_count:     16
    .sgpr_spill_count: 0
    .symbol:         bluestein_single_fwd_len85_dim1_sp_op_CI_CI.kd
    .uniform_work_group_size: 1
    .uses_dynamic_stack: false
    .vgpr_count:     197
    .vgpr_spill_count: 0
    .wavefront_size: 32
    .workgroup_processor_mode: 1
amdhsa.target:   amdgcn-amd-amdhsa--gfx1030
amdhsa.version:
  - 1
  - 2
...

	.end_amdgpu_metadata
